;; amdgpu-corpus repo=ggml-org/llama.cpp kind=compiled arch=gfx906 opt=O3
	.amdgcn_target "amdgcn-amd-amdhsa--gfx906"
	.amdhsa_code_object_version 6
	.section	.text._ZL13mm_ids_helperILi2EEvPKiPiS2_S2_iiiii,"axG",@progbits,_ZL13mm_ids_helperILi2EEvPKiPiS2_S2_iiiii,comdat
	.globl	_ZL13mm_ids_helperILi2EEvPKiPiS2_S2_iiiii ; -- Begin function _ZL13mm_ids_helperILi2EEvPKiPiS2_S2_iiiii
	.p2align	8
	.type	_ZL13mm_ids_helperILi2EEvPKiPiS2_S2_iiiii,@function
_ZL13mm_ids_helperILi2EEvPKiPiS2_S2_iiiii: ; @_ZL13mm_ids_helperILi2EEvPKiPiS2_S2_iiiii
; %bb.0:
	s_load_dword s7, s[4:5], 0x20
	s_load_dwordx4 s[72:75], s[4:5], 0x28
	v_mbcnt_lo_u32_b32 v1, -1, 0
	s_waitcnt lgkmcnt(0)
	s_cmp_gt_i32 s7, 0
	s_cbranch_scc1 .LBB0_2
; %bb.1:
	v_mbcnt_hi_u32_b32 v3, -1, v1
	v_and_b32_e32 v5, 64, v3
	v_xor_b32_e32 v4, 1, v3
	s_mov_b64 s[0:1], 0
	s_branch .LBB0_3
.LBB0_2:
	s_mov_b64 s[0:1], -1
                                        ; implicit-def: $vgpr3
                                        ; implicit-def: $vgpr5
                                        ; implicit-def: $vgpr4
.LBB0_3:
	s_load_dwordx4 s[76:79], s[4:5], 0x8
	s_load_dwordx2 s[70:71], s[4:5], 0x18
	v_mov_b32_e32 v23, 0
	s_andn2_b64 vcc, exec, s[0:1]
	v_mov_b32_e32 v6, 0
	s_cbranch_vccnz .LBB0_10
; %bb.4:
	v_mbcnt_hi_u32_b32 v3, -1, v1
	v_and_b32_e32 v1, 0x7e, v3
	v_xor_b32_e32 v4, 1, v3
	v_add_u32_e32 v1, 2, v1
	v_cmp_lt_i32_e32 vcc, v4, v1
	v_cndmask_b32_e32 v1, v3, v4, vcc
	v_lshlrev_b32_e32 v7, 2, v1
	v_bfrev_b32_e32 v1, 0.5
	v_and_b32_e32 v5, 64, v3
	v_lshl_or_b32 v8, v3, 2, v1
	v_add_u32_e32 v1, -2, v3
	v_cmp_lt_i32_e32 vcc, v1, v5
	v_cndmask_b32_e32 v1, v1, v3, vcc
	v_lshlrev_b32_e32 v9, 2, v1
	v_add_u32_e32 v1, -4, v3
	v_cmp_lt_i32_e64 s[0:1], v1, v5
	v_cndmask_b32_e64 v1, v1, v3, s[0:1]
	v_lshlrev_b32_e32 v10, 2, v1
	v_add_u32_e32 v1, -6, v3
	v_cmp_lt_i32_e64 s[2:3], v1, v5
	v_cndmask_b32_e64 v1, v1, v3, s[2:3]
	;; [unrolled: 4-line block ×7, first 2 shown]
	v_lshlrev_b32_e32 v16, 2, v1
	v_subrev_u32_e32 v1, 18, v3
	v_cmp_lt_i32_e64 s[18:19], v1, v5
	v_cndmask_b32_e64 v1, v1, v3, s[18:19]
	v_lshlrev_b32_e32 v17, 2, v1
	v_subrev_u32_e32 v1, 20, v3
	v_cmp_lt_i32_e64 s[20:21], v1, v5
	v_cndmask_b32_e64 v1, v1, v3, s[20:21]
	;; [unrolled: 4-line block ×23, first 2 shown]
	s_load_dwordx2 s[80:81], s[4:5], 0x0
	v_lshlrev_b32_e32 v40, 2, v1
	v_lshrrev_b32_e32 v41, 1, v0
	v_and_b32_e32 v1, 1, v0
	v_lshlrev_b32_e32 v42, 22, v1
	v_mad_u64_u32 v[1:2], s[66:67], s73, v41, v[1:2]
	v_cmp_gt_u32_e32 vcc, 2, v0
	v_cmp_gt_u32_e64 s[0:1], 4, v0
	v_cmp_gt_u32_e64 s[2:3], 6, v0
	;; [unrolled: 1-line block ×30, first 2 shown]
	s_lshl_b32 s33, s73, 5
	s_mov_b32 s73, 0
	s_mov_b32 s75, 0x3fffff
	v_mov_b32_e32 v23, 0
	v_mov_b32_e32 v6, 0
	s_branch .LBB0_6
.LBB0_5:                                ;   in Loop: Header=BB0_6 Depth=1
	s_or_b64 exec, exec, s[68:69]
	v_add_u32_e32 v43, v45, v44
	ds_bpermute_b32 v43, v8, v43
	v_cmp_gt_i32_e64 s[66:67], s6, v2
	s_add_i32 s73, s73, 32
	v_addc_co_u32_e64 v23, s[66:67], 0, v23, s[66:67]
	s_waitcnt lgkmcnt(0)
	v_add_u32_e32 v6, v43, v6
	s_cmp_ge_i32 s73, s7
	v_add_u32_e32 v1, s33, v1
	s_cbranch_scc1 .LBB0_10
.LBB0_6:                                ; =>This Inner Loop Header: Depth=1
	v_add_u32_e32 v43, s73, v41
	v_cmp_gt_i32_e64 s[66:67], s7, v43
	v_bfrev_b32_e32 v2, -2
	s_and_saveexec_b64 s[68:69], s[66:67]
	s_cbranch_execz .LBB0_8
; %bb.7:                                ;   in Loop: Header=BB0_6 Depth=1
	v_ashrrev_i32_e32 v2, 31, v1
	v_lshlrev_b64 v[44:45], 2, v[1:2]
	s_waitcnt lgkmcnt(0)
	v_mov_b32_e32 v2, s81
	v_add_co_u32_e64 v44, s[66:67], s80, v44
	v_addc_co_u32_e64 v45, s[66:67], v2, v45, s[66:67]
	global_load_dword v2, v[44:45], off
.LBB0_8:                                ;   in Loop: Header=BB0_6 Depth=1
	s_or_b64 exec, exec, s[68:69]
	s_waitcnt vmcnt(0)
	v_cmp_eq_u32_e64 s[66:67], s6, v2
	v_cndmask_b32_e64 v44, 0, 1, s[66:67]
	ds_bpermute_b32 v45, v7, v44
	s_waitcnt lgkmcnt(0)
	v_or_b32_e32 v44, v45, v44
	v_cmp_ne_u32_e64 s[68:69], 0, v44
	v_cndmask_b32_e64 v44, 0, 1, s[68:69]
	ds_bpermute_b32 v45, v9, v44
	ds_bpermute_b32 v46, v10, v44
	;; [unrolled: 1-line block ×5, first 2 shown]
	s_waitcnt lgkmcnt(4)
	v_cndmask_b32_e64 v45, v45, 0, vcc
	s_waitcnt lgkmcnt(3)
	v_cndmask_b32_e64 v46, v46, 0, s[0:1]
	s_waitcnt lgkmcnt(2)
	v_cndmask_b32_e64 v47, v47, 0, s[2:3]
	v_add3_u32 v45, v46, v45, v47
	ds_bpermute_b32 v46, v14, v44
	ds_bpermute_b32 v47, v15, v44
	s_waitcnt lgkmcnt(3)
	v_cndmask_b32_e64 v48, v48, 0, s[8:9]
	s_waitcnt lgkmcnt(2)
	v_cndmask_b32_e64 v49, v49, 0, s[10:11]
	v_add3_u32 v45, v48, v45, v49
	s_waitcnt lgkmcnt(1)
	v_cndmask_b32_e64 v46, v46, 0, s[12:13]
	s_waitcnt lgkmcnt(0)
	v_cndmask_b32_e64 v47, v47, 0, s[14:15]
	ds_bpermute_b32 v48, v16, v44
	ds_bpermute_b32 v49, v17, v44
	v_add3_u32 v45, v46, v45, v47
	ds_bpermute_b32 v46, v18, v44
	ds_bpermute_b32 v47, v19, v44
	s_waitcnt lgkmcnt(3)
	v_cndmask_b32_e64 v48, v48, 0, s[16:17]
	s_waitcnt lgkmcnt(2)
	v_cndmask_b32_e64 v49, v49, 0, s[18:19]
	v_add3_u32 v45, v48, v45, v49
	s_waitcnt lgkmcnt(1)
	v_cndmask_b32_e64 v46, v46, 0, s[20:21]
	s_waitcnt lgkmcnt(0)
	v_cndmask_b32_e64 v47, v47, 0, s[22:23]
	ds_bpermute_b32 v48, v20, v44
	ds_bpermute_b32 v49, v21, v44
	;; [unrolled: 14-line block ×6, first 2 shown]
	v_add3_u32 v45, v46, v45, v47
	ds_bpermute_b32 v46, v39, v44
	ds_bpermute_b32 v47, v40, v44
	s_waitcnt lgkmcnt(3)
	v_cndmask_b32_e64 v48, v48, 0, s[58:59]
	s_waitcnt lgkmcnt(2)
	v_cndmask_b32_e64 v49, v49, 0, s[60:61]
	v_add3_u32 v45, v48, v45, v49
	s_waitcnt lgkmcnt(1)
	v_cndmask_b32_e64 v46, v46, 0, s[62:63]
	s_waitcnt lgkmcnt(0)
	v_cndmask_b32_e64 v47, v47, 0, s[64:65]
	v_add3_u32 v45, v46, v45, v47
	s_and_saveexec_b64 s[68:69], s[66:67]
	s_cbranch_execz .LBB0_5
; %bb.9:                                ;   in Loop: Header=BB0_6 Depth=1
	v_lshlrev_b32_e32 v46, 2, v6
	v_lshlrev_b32_e32 v47, 2, v45
	v_add3_u32 v46, 0, v46, v47
	v_and_or_b32 v43, v43, s75, v42
	ds_write_b32 v46, v43
	s_branch .LBB0_5
.LBB0_10:
	v_add_u32_e32 v5, 64, v5
	v_xor_b32_e32 v1, 32, v3
	v_cmp_lt_i32_e32 vcc, v1, v5
	v_cndmask_b32_e32 v1, v3, v1, vcc
	v_lshlrev_b32_e32 v1, 2, v1
	ds_bpermute_b32 v1, v1, v23
	v_xor_b32_e32 v2, 16, v3
	v_cmp_lt_i32_e32 vcc, v2, v5
	v_cndmask_b32_e32 v2, v3, v2, vcc
	v_lshlrev_b32_e32 v2, 2, v2
	s_waitcnt lgkmcnt(0)
	v_add_u32_e32 v7, v1, v23
	ds_bpermute_b32 v2, v2, v7
	v_xor_b32_e32 v8, 8, v3
	v_cmp_lt_i32_e32 vcc, v8, v5
	v_xor_b32_e32 v10, 2, v3
	s_waitcnt lgkmcnt(0)
	v_add_u32_e32 v9, v2, v7
	v_cndmask_b32_e32 v7, v3, v8, vcc
	v_lshlrev_b32_e32 v7, 2, v7
	ds_bpermute_b32 v7, v7, v9
	v_xor_b32_e32 v8, 4, v3
	v_cmp_lt_i32_e32 vcc, v8, v5
	v_cndmask_b32_e32 v8, v3, v8, vcc
	v_lshlrev_b32_e32 v8, 2, v8
	s_waitcnt lgkmcnt(0)
	v_add_u32_e32 v9, v7, v9
	ds_bpermute_b32 v8, v8, v9
	v_cmp_lt_i32_e32 vcc, v10, v5
	s_waitcnt lgkmcnt(0)
	v_add_u32_e32 v11, v8, v9
	v_cndmask_b32_e32 v9, v3, v10, vcc
	v_lshlrev_b32_e32 v9, 2, v9
	ds_bpermute_b32 v9, v9, v11
	v_cmp_lt_i32_e32 vcc, v4, v5
	v_cndmask_b32_e32 v4, v3, v4, vcc
	v_lshlrev_b32_e32 v4, 2, v4
	v_cmp_lt_i32_e32 vcc, v0, v6
	s_waitcnt lgkmcnt(0)
	v_add_u32_e32 v3, v9, v11
	ds_bpermute_b32 v4, v4, v3
	s_and_saveexec_b64 s[2:3], vcc
	s_cbranch_execz .LBB0_13
; %bb.11:
	s_abs_i32 s7, s72
	v_cvt_f32_u32_e32 v5, s7
	s_sub_i32 s0, 0, s7
	v_add_u32_e32 v1, v1, v2
	v_add3_u32 v1, v1, v7, v8
	v_rcp_iflag_f32_e32 v5, v5
	s_waitcnt lgkmcnt(0)
	v_add3_u32 v1, v1, v9, v4
	s_mov_b64 s[8:9], 0
	v_add3_u32 v1, v1, v0, v23
	v_mul_f32_e32 v5, 0x4f7ffffe, v5
	v_cvt_u32_f32_e32 v10, v5
	v_lshl_add_u32 v5, v0, 2, 0
	v_mov_b32_e32 v8, v0
	v_mul_lo_u32 v11, s0, v10
	v_mul_hi_u32 v2, v10, v11
	v_add_u32_e32 v7, v10, v2
.LBB0_12:                               ; =>This Inner Loop Header: Depth=1
	ds_read_b32 v13, v5
	v_ashrrev_i32_e32 v2, 31, v1
	v_lshlrev_b64 v[9:10], 2, v[1:2]
	v_add_u32_e32 v8, 64, v8
	v_cmp_ge_i32_e32 vcc, v8, v6
	s_waitcnt lgkmcnt(0)
	v_lshrrev_b32_e32 v17, 22, v13
	v_mul_hi_u32 v2, v17, v7
	v_and_b32_e32 v16, 0x3fffff, v13
	v_mov_b32_e32 v12, s77
	s_or_b64 s[8:9], vcc, s[8:9]
	v_mul_lo_u32 v2, v2, s7
	v_add_co_u32_e32 v11, vcc, s76, v9
	v_addc_co_u32_e32 v12, vcc, v12, v10, vcc
	v_sub_u32_e32 v2, v17, v2
	v_subrev_u32_e32 v13, s7, v2
	v_cmp_le_u32_e64 s[0:1], s7, v2
	v_cndmask_b32_e64 v2, v2, v13, s[0:1]
	v_subrev_u32_e32 v13, s7, v2
	v_cmp_le_u32_e64 s[0:1], s7, v2
	v_cndmask_b32_e64 v2, v2, v13, s[0:1]
	v_mad_u64_u32 v[13:14], s[0:1], v16, s74, v[2:3]
	v_mov_b32_e32 v15, s79
	v_add_co_u32_e32 v9, vcc, s78, v9
	v_add_u32_e32 v5, 0x100, v5
	v_add_u32_e32 v1, 64, v1
	v_addc_co_u32_e32 v10, vcc, v15, v10, vcc
	v_lshl_add_u32 v2, v16, 1, v17
	global_store_dword v[9:10], v2, off
	global_store_dword v[11:12], v13, off
	s_andn2_b64 exec, exec, s[8:9]
	s_cbranch_execnz .LBB0_12
.LBB0_13:
	s_or_b64 exec, exec, s[2:3]
	v_cmp_eq_u32_e32 vcc, 0, v0
	s_and_saveexec_b64 s[0:1], vcc
	s_cbranch_execz .LBB0_16
; %bb.14:
	s_load_dword s0, s[4:5], 0x38
	s_ashr_i32 s7, s6, 31
	s_lshl_b64 s[2:3], s[6:7], 2
	s_add_u32 s2, s70, s2
	s_addc_u32 s3, s71, s3
	s_waitcnt lgkmcnt(0)
	s_add_i32 s1, s0, -1
	v_add_u32_e32 v0, v4, v3
	v_mov_b32_e32 v1, 0
	s_cmp_lt_i32 s6, s1
	global_store_dword v1, v0, s[2:3]
	s_cbranch_scc1 .LBB0_16
; %bb.15:
	s_mov_b32 s1, 0
	s_lshl_b64 s[0:1], s[0:1], 2
	s_add_u32 s0, s70, s0
	s_addc_u32 s1, s71, s1
	v_add_u32_e32 v0, v0, v6
	global_store_dword v1, v0, s[0:1]
.LBB0_16:
	s_endpgm
	.section	.rodata,"a",@progbits
	.p2align	6, 0x0
	.amdhsa_kernel _ZL13mm_ids_helperILi2EEvPKiPiS2_S2_iiiii
		.amdhsa_group_segment_fixed_size 0
		.amdhsa_private_segment_fixed_size 0
		.amdhsa_kernarg_size 312
		.amdhsa_user_sgpr_count 6
		.amdhsa_user_sgpr_private_segment_buffer 1
		.amdhsa_user_sgpr_dispatch_ptr 0
		.amdhsa_user_sgpr_queue_ptr 0
		.amdhsa_user_sgpr_kernarg_segment_ptr 1
		.amdhsa_user_sgpr_dispatch_id 0
		.amdhsa_user_sgpr_flat_scratch_init 0
		.amdhsa_user_sgpr_private_segment_size 0
		.amdhsa_uses_dynamic_stack 0
		.amdhsa_system_sgpr_private_segment_wavefront_offset 0
		.amdhsa_system_sgpr_workgroup_id_x 1
		.amdhsa_system_sgpr_workgroup_id_y 0
		.amdhsa_system_sgpr_workgroup_id_z 0
		.amdhsa_system_sgpr_workgroup_info 0
		.amdhsa_system_vgpr_workitem_id 0
		.amdhsa_next_free_vgpr 50
		.amdhsa_next_free_sgpr 82
		.amdhsa_reserve_vcc 1
		.amdhsa_reserve_flat_scratch 0
		.amdhsa_float_round_mode_32 0
		.amdhsa_float_round_mode_16_64 0
		.amdhsa_float_denorm_mode_32 3
		.amdhsa_float_denorm_mode_16_64 3
		.amdhsa_dx10_clamp 1
		.amdhsa_ieee_mode 1
		.amdhsa_fp16_overflow 0
		.amdhsa_exception_fp_ieee_invalid_op 0
		.amdhsa_exception_fp_denorm_src 0
		.amdhsa_exception_fp_ieee_div_zero 0
		.amdhsa_exception_fp_ieee_overflow 0
		.amdhsa_exception_fp_ieee_underflow 0
		.amdhsa_exception_fp_ieee_inexact 0
		.amdhsa_exception_int_div_zero 0
	.end_amdhsa_kernel
	.section	.text._ZL13mm_ids_helperILi2EEvPKiPiS2_S2_iiiii,"axG",@progbits,_ZL13mm_ids_helperILi2EEvPKiPiS2_S2_iiiii,comdat
.Lfunc_end0:
	.size	_ZL13mm_ids_helperILi2EEvPKiPiS2_S2_iiiii, .Lfunc_end0-_ZL13mm_ids_helperILi2EEvPKiPiS2_S2_iiiii
                                        ; -- End function
	.set _ZL13mm_ids_helperILi2EEvPKiPiS2_S2_iiiii.num_vgpr, 50
	.set _ZL13mm_ids_helperILi2EEvPKiPiS2_S2_iiiii.num_agpr, 0
	.set _ZL13mm_ids_helperILi2EEvPKiPiS2_S2_iiiii.numbered_sgpr, 82
	.set _ZL13mm_ids_helperILi2EEvPKiPiS2_S2_iiiii.num_named_barrier, 0
	.set _ZL13mm_ids_helperILi2EEvPKiPiS2_S2_iiiii.private_seg_size, 0
	.set _ZL13mm_ids_helperILi2EEvPKiPiS2_S2_iiiii.uses_vcc, 1
	.set _ZL13mm_ids_helperILi2EEvPKiPiS2_S2_iiiii.uses_flat_scratch, 0
	.set _ZL13mm_ids_helperILi2EEvPKiPiS2_S2_iiiii.has_dyn_sized_stack, 0
	.set _ZL13mm_ids_helperILi2EEvPKiPiS2_S2_iiiii.has_recursion, 0
	.set _ZL13mm_ids_helperILi2EEvPKiPiS2_S2_iiiii.has_indirect_call, 0
	.section	.AMDGPU.csdata,"",@progbits
; Kernel info:
; codeLenInByte = 2728
; TotalNumSgprs: 86
; NumVgprs: 50
; ScratchSize: 0
; MemoryBound: 0
; FloatMode: 240
; IeeeMode: 1
; LDSByteSize: 0 bytes/workgroup (compile time only)
; SGPRBlocks: 10
; VGPRBlocks: 12
; NumSGPRsForWavesPerEU: 86
; NumVGPRsForWavesPerEU: 50
; Occupancy: 4
; WaveLimiterHint : 0
; COMPUTE_PGM_RSRC2:SCRATCH_EN: 0
; COMPUTE_PGM_RSRC2:USER_SGPR: 6
; COMPUTE_PGM_RSRC2:TRAP_HANDLER: 0
; COMPUTE_PGM_RSRC2:TGID_X_EN: 1
; COMPUTE_PGM_RSRC2:TGID_Y_EN: 0
; COMPUTE_PGM_RSRC2:TGID_Z_EN: 0
; COMPUTE_PGM_RSRC2:TIDIG_COMP_CNT: 0
	.section	.text._ZL13mm_ids_helperILi4EEvPKiPiS2_S2_iiiii,"axG",@progbits,_ZL13mm_ids_helperILi4EEvPKiPiS2_S2_iiiii,comdat
	.globl	_ZL13mm_ids_helperILi4EEvPKiPiS2_S2_iiiii ; -- Begin function _ZL13mm_ids_helperILi4EEvPKiPiS2_S2_iiiii
	.p2align	8
	.type	_ZL13mm_ids_helperILi4EEvPKiPiS2_S2_iiiii,@function
_ZL13mm_ids_helperILi4EEvPKiPiS2_S2_iiiii: ; @_ZL13mm_ids_helperILi4EEvPKiPiS2_S2_iiiii
; %bb.0:
	s_load_dword s7, s[4:5], 0x20
	s_load_dwordx4 s[40:43], s[4:5], 0x28
	v_mbcnt_lo_u32_b32 v1, -1, 0
	s_waitcnt lgkmcnt(0)
	s_cmp_gt_i32 s7, 0
	s_cbranch_scc1 .LBB1_2
; %bb.1:
	v_mbcnt_hi_u32_b32 v4, -1, v1
	v_and_b32_e32 v7, 64, v4
	v_xor_b32_e32 v5, 2, v4
	v_xor_b32_e32 v6, 1, v4
	s_mov_b64 s[0:1], 0
	s_branch .LBB1_3
.LBB1_2:
	s_mov_b64 s[0:1], -1
                                        ; implicit-def: $vgpr4
                                        ; implicit-def: $vgpr7
                                        ; implicit-def: $vgpr5
                                        ; implicit-def: $vgpr6
.LBB1_3:
	s_load_dwordx4 s[44:47], s[4:5], 0x8
	s_load_dwordx2 s[38:39], s[4:5], 0x18
	v_mov_b32_e32 v8, 0
	s_andn2_b64 vcc, exec, s[0:1]
	v_mov_b32_e32 v3, 0
	s_cbranch_vccnz .LBB1_10
; %bb.4:
	v_mbcnt_hi_u32_b32 v4, -1, v1
	v_and_b32_e32 v1, 0x7c, v4
	v_add_u32_e32 v1, 4, v1
	v_xor_b32_e32 v5, 2, v4
	v_cmp_lt_i32_e32 vcc, v5, v1
	v_xor_b32_e32 v6, 1, v4
	v_cndmask_b32_e32 v2, v4, v5, vcc
	v_cmp_lt_i32_e32 vcc, v6, v1
	v_cndmask_b32_e32 v1, v4, v6, vcc
	v_lshlrev_b32_e32 v10, 2, v1
	v_bfrev_b32_e32 v1, 0.5
	v_and_b32_e32 v7, 64, v4
	v_lshl_or_b32 v11, v4, 2, v1
	v_add_u32_e32 v1, -4, v4
	v_cmp_lt_i32_e32 vcc, v1, v7
	v_cndmask_b32_e32 v1, v1, v4, vcc
	v_lshlrev_b32_e32 v12, 2, v1
	v_add_u32_e32 v1, -8, v4
	v_cmp_lt_i32_e64 s[0:1], v1, v7
	v_cndmask_b32_e64 v1, v1, v4, s[0:1]
	v_lshlrev_b32_e32 v13, 2, v1
	v_add_u32_e32 v1, -12, v4
	v_cmp_lt_i32_e64 s[2:3], v1, v7
	v_cndmask_b32_e64 v1, v1, v4, s[2:3]
	;; [unrolled: 4-line block ×3, first 2 shown]
	v_lshlrev_b32_e32 v15, 2, v1
	v_subrev_u32_e32 v1, 20, v4
	v_cmp_lt_i32_e64 s[10:11], v1, v7
	v_cndmask_b32_e64 v1, v1, v4, s[10:11]
	v_lshlrev_b32_e32 v16, 2, v1
	v_subrev_u32_e32 v1, 24, v4
	v_cmp_lt_i32_e64 s[12:13], v1, v7
	v_cndmask_b32_e64 v1, v1, v4, s[12:13]
	;; [unrolled: 4-line block ×11, first 2 shown]
	s_load_dwordx2 s[48:49], s[4:5], 0x0
	v_lshlrev_b32_e32 v26, 2, v1
	v_lshrrev_b32_e32 v27, 2, v0
	v_and_b32_e32 v1, 3, v0
	v_lshlrev_b32_e32 v9, 2, v2
	v_lshlrev_b32_e32 v28, 22, v1
	v_mad_u64_u32 v[1:2], s[34:35], s41, v27, v[1:2]
	v_cmp_gt_u32_e32 vcc, 4, v0
	v_cmp_gt_u32_e64 s[0:1], 8, v0
	v_cmp_gt_u32_e64 s[2:3], 12, v0
	;; [unrolled: 1-line block ×14, first 2 shown]
	s_lshl_b32 s33, s41, 4
	s_mov_b32 s41, 0
	s_mov_b32 s43, 0x3fffff
	v_mov_b32_e32 v8, 0
	v_mov_b32_e32 v3, 0
	s_branch .LBB1_6
.LBB1_5:                                ;   in Loop: Header=BB1_6 Depth=1
	s_or_b64 exec, exec, s[36:37]
	v_add_u32_e32 v29, v31, v30
	ds_bpermute_b32 v29, v11, v29
	v_cmp_gt_i32_e64 s[34:35], s6, v2
	s_add_i32 s41, s41, 16
	v_addc_co_u32_e64 v8, s[34:35], 0, v8, s[34:35]
	s_waitcnt lgkmcnt(0)
	v_add_u32_e32 v3, v29, v3
	s_cmp_ge_i32 s41, s7
	v_add_u32_e32 v1, s33, v1
	s_cbranch_scc1 .LBB1_10
.LBB1_6:                                ; =>This Inner Loop Header: Depth=1
	v_add_u32_e32 v29, s41, v27
	v_cmp_gt_i32_e64 s[34:35], s7, v29
	v_bfrev_b32_e32 v2, -2
	s_and_saveexec_b64 s[36:37], s[34:35]
	s_cbranch_execz .LBB1_8
; %bb.7:                                ;   in Loop: Header=BB1_6 Depth=1
	v_ashrrev_i32_e32 v2, 31, v1
	v_lshlrev_b64 v[30:31], 2, v[1:2]
	s_waitcnt lgkmcnt(0)
	v_mov_b32_e32 v2, s49
	v_add_co_u32_e64 v30, s[34:35], s48, v30
	v_addc_co_u32_e64 v31, s[34:35], v2, v31, s[34:35]
	global_load_dword v2, v[30:31], off
.LBB1_8:                                ;   in Loop: Header=BB1_6 Depth=1
	s_or_b64 exec, exec, s[36:37]
	s_waitcnt vmcnt(0)
	v_cmp_eq_u32_e64 s[34:35], s6, v2
	v_cndmask_b32_e64 v30, 0, 1, s[34:35]
	ds_bpermute_b32 v31, v9, v30
	s_waitcnt lgkmcnt(0)
	v_or_b32_e32 v30, v31, v30
	v_cmp_ne_u32_e64 s[36:37], 0, v30
	v_cndmask_b32_e64 v31, 0, 1, s[36:37]
	ds_bpermute_b32 v31, v10, v31
	s_waitcnt lgkmcnt(0)
	v_or_b32_e32 v30, v31, v30
	v_cmp_ne_u32_e64 s[36:37], 0, v30
	v_cndmask_b32_e64 v30, 0, 1, s[36:37]
	ds_bpermute_b32 v31, v12, v30
	ds_bpermute_b32 v32, v13, v30
	;; [unrolled: 1-line block ×3, first 2 shown]
	s_waitcnt lgkmcnt(2)
	v_cndmask_b32_e64 v31, v31, 0, vcc
	s_waitcnt lgkmcnt(1)
	v_cndmask_b32_e64 v32, v32, 0, s[0:1]
	s_waitcnt lgkmcnt(0)
	v_cndmask_b32_e64 v33, v33, 0, s[2:3]
	v_add3_u32 v31, v32, v31, v33
	ds_bpermute_b32 v32, v15, v30
	ds_bpermute_b32 v33, v16, v30
	s_waitcnt lgkmcnt(1)
	v_cndmask_b32_e64 v32, v32, 0, s[8:9]
	s_waitcnt lgkmcnt(0)
	v_cndmask_b32_e64 v33, v33, 0, s[10:11]
	v_add3_u32 v31, v32, v31, v33
	ds_bpermute_b32 v32, v17, v30
	ds_bpermute_b32 v33, v18, v30
	;; [unrolled: 7-line block ×6, first 2 shown]
	s_waitcnt lgkmcnt(1)
	v_cndmask_b32_e64 v32, v32, 0, s[28:29]
	s_waitcnt lgkmcnt(0)
	v_cndmask_b32_e64 v33, v33, 0, s[30:31]
	v_add3_u32 v31, v32, v31, v33
	s_and_saveexec_b64 s[36:37], s[34:35]
	s_cbranch_execz .LBB1_5
; %bb.9:                                ;   in Loop: Header=BB1_6 Depth=1
	v_lshlrev_b32_e32 v32, 2, v3
	v_lshlrev_b32_e32 v33, 2, v31
	v_add3_u32 v32, 0, v32, v33
	v_and_or_b32 v29, v29, s43, v28
	ds_write_b32 v32, v29
	s_branch .LBB1_5
.LBB1_10:
	v_add_u32_e32 v11, 64, v7
	v_xor_b32_e32 v1, 32, v4
	v_cmp_lt_i32_e32 vcc, v1, v11
	v_cndmask_b32_e32 v1, v4, v1, vcc
	v_lshlrev_b32_e32 v1, 2, v1
	ds_bpermute_b32 v1, v1, v8
	v_xor_b32_e32 v2, 16, v4
	v_cmp_lt_i32_e32 vcc, v2, v11
	v_cndmask_b32_e32 v2, v4, v2, vcc
	v_lshlrev_b32_e32 v2, 2, v2
	s_waitcnt lgkmcnt(0)
	v_add_u32_e32 v7, v1, v8
	ds_bpermute_b32 v2, v2, v7
	v_xor_b32_e32 v9, 8, v4
	v_cmp_lt_i32_e32 vcc, v9, v11
	s_waitcnt lgkmcnt(0)
	v_add_u32_e32 v10, v2, v7
	v_cndmask_b32_e32 v7, v4, v9, vcc
	v_lshlrev_b32_e32 v7, 2, v7
	ds_bpermute_b32 v7, v7, v10
	v_xor_b32_e32 v9, 4, v4
	v_cmp_lt_i32_e32 vcc, v9, v11
	v_cndmask_b32_e32 v9, v4, v9, vcc
	v_lshlrev_b32_e32 v9, 2, v9
	s_waitcnt lgkmcnt(0)
	v_add_u32_e32 v10, v7, v10
	ds_bpermute_b32 v9, v9, v10
	v_cmp_lt_i32_e32 vcc, v5, v11
	v_cndmask_b32_e32 v5, v4, v5, vcc
	v_lshlrev_b32_e32 v5, 2, v5
	v_cmp_lt_i32_e32 vcc, v6, v11
	s_waitcnt lgkmcnt(0)
	v_add_u32_e32 v12, v9, v10
	ds_bpermute_b32 v10, v5, v12
	v_cndmask_b32_e32 v5, v4, v6, vcc
	v_lshlrev_b32_e32 v5, 2, v5
	v_cmp_lt_i32_e32 vcc, v0, v3
	s_waitcnt lgkmcnt(0)
	v_add_u32_e32 v4, v10, v12
	ds_bpermute_b32 v5, v5, v4
	s_and_saveexec_b64 s[2:3], vcc
	s_cbranch_execz .LBB1_13
; %bb.11:
	s_abs_i32 s7, s40
	v_cvt_f32_u32_e32 v6, s7
	s_sub_i32 s0, 0, s7
	v_add_u32_e32 v1, v1, v2
	v_add3_u32 v1, v1, v7, v9
	v_rcp_iflag_f32_e32 v6, v6
	s_waitcnt lgkmcnt(0)
	v_add3_u32 v1, v1, v10, v5
	s_mov_b64 s[8:9], 0
	v_add3_u32 v1, v1, v0, v8
	v_mul_f32_e32 v6, 0x4f7ffffe, v6
	v_cvt_u32_f32_e32 v11, v6
	v_lshl_add_u32 v6, v0, 2, 0
	v_mov_b32_e32 v8, v0
	v_mul_lo_u32 v12, s0, v11
	v_mul_hi_u32 v2, v11, v12
	v_add_u32_e32 v7, v11, v2
.LBB1_12:                               ; =>This Inner Loop Header: Depth=1
	ds_read_b32 v13, v6
	v_ashrrev_i32_e32 v2, 31, v1
	v_lshlrev_b64 v[9:10], 2, v[1:2]
	v_add_u32_e32 v8, 64, v8
	v_cmp_ge_i32_e32 vcc, v8, v3
	s_waitcnt lgkmcnt(0)
	v_lshrrev_b32_e32 v17, 22, v13
	v_mul_hi_u32 v2, v17, v7
	v_and_b32_e32 v16, 0x3fffff, v13
	v_mov_b32_e32 v12, s45
	s_or_b64 s[8:9], vcc, s[8:9]
	v_mul_lo_u32 v2, v2, s7
	v_add_co_u32_e32 v11, vcc, s44, v9
	v_addc_co_u32_e32 v12, vcc, v12, v10, vcc
	v_sub_u32_e32 v2, v17, v2
	v_subrev_u32_e32 v13, s7, v2
	v_cmp_le_u32_e64 s[0:1], s7, v2
	v_cndmask_b32_e64 v2, v2, v13, s[0:1]
	v_subrev_u32_e32 v13, s7, v2
	v_cmp_le_u32_e64 s[0:1], s7, v2
	v_cndmask_b32_e64 v2, v2, v13, s[0:1]
	v_mad_u64_u32 v[13:14], s[0:1], v16, s42, v[2:3]
	v_mov_b32_e32 v15, s47
	v_add_co_u32_e32 v9, vcc, s46, v9
	v_add_u32_e32 v6, 0x100, v6
	v_add_u32_e32 v1, 64, v1
	v_addc_co_u32_e32 v10, vcc, v15, v10, vcc
	v_lshl_add_u32 v2, v16, 2, v17
	global_store_dword v[9:10], v2, off
	global_store_dword v[11:12], v13, off
	s_andn2_b64 exec, exec, s[8:9]
	s_cbranch_execnz .LBB1_12
.LBB1_13:
	s_or_b64 exec, exec, s[2:3]
	v_cmp_eq_u32_e32 vcc, 0, v0
	s_and_saveexec_b64 s[0:1], vcc
	s_cbranch_execz .LBB1_16
; %bb.14:
	s_load_dword s0, s[4:5], 0x38
	s_ashr_i32 s7, s6, 31
	s_lshl_b64 s[2:3], s[6:7], 2
	s_add_u32 s2, s38, s2
	s_addc_u32 s3, s39, s3
	s_waitcnt lgkmcnt(0)
	s_add_i32 s1, s0, -1
	v_add_u32_e32 v0, v5, v4
	v_mov_b32_e32 v1, 0
	s_cmp_lt_i32 s6, s1
	global_store_dword v1, v0, s[2:3]
	s_cbranch_scc1 .LBB1_16
; %bb.15:
	s_mov_b32 s1, 0
	s_lshl_b64 s[0:1], s[0:1], 2
	s_add_u32 s0, s38, s0
	s_addc_u32 s1, s39, s1
	v_add_u32_e32 v0, v0, v3
	global_store_dword v1, v0, s[0:1]
.LBB1_16:
	s_endpgm
	.section	.rodata,"a",@progbits
	.p2align	6, 0x0
	.amdhsa_kernel _ZL13mm_ids_helperILi4EEvPKiPiS2_S2_iiiii
		.amdhsa_group_segment_fixed_size 0
		.amdhsa_private_segment_fixed_size 0
		.amdhsa_kernarg_size 312
		.amdhsa_user_sgpr_count 6
		.amdhsa_user_sgpr_private_segment_buffer 1
		.amdhsa_user_sgpr_dispatch_ptr 0
		.amdhsa_user_sgpr_queue_ptr 0
		.amdhsa_user_sgpr_kernarg_segment_ptr 1
		.amdhsa_user_sgpr_dispatch_id 0
		.amdhsa_user_sgpr_flat_scratch_init 0
		.amdhsa_user_sgpr_private_segment_size 0
		.amdhsa_uses_dynamic_stack 0
		.amdhsa_system_sgpr_private_segment_wavefront_offset 0
		.amdhsa_system_sgpr_workgroup_id_x 1
		.amdhsa_system_sgpr_workgroup_id_y 0
		.amdhsa_system_sgpr_workgroup_id_z 0
		.amdhsa_system_sgpr_workgroup_info 0
		.amdhsa_system_vgpr_workitem_id 0
		.amdhsa_next_free_vgpr 34
		.amdhsa_next_free_sgpr 50
		.amdhsa_reserve_vcc 1
		.amdhsa_reserve_flat_scratch 0
		.amdhsa_float_round_mode_32 0
		.amdhsa_float_round_mode_16_64 0
		.amdhsa_float_denorm_mode_32 3
		.amdhsa_float_denorm_mode_16_64 3
		.amdhsa_dx10_clamp 1
		.amdhsa_ieee_mode 1
		.amdhsa_fp16_overflow 0
		.amdhsa_exception_fp_ieee_invalid_op 0
		.amdhsa_exception_fp_denorm_src 0
		.amdhsa_exception_fp_ieee_div_zero 0
		.amdhsa_exception_fp_ieee_overflow 0
		.amdhsa_exception_fp_ieee_underflow 0
		.amdhsa_exception_fp_ieee_inexact 0
		.amdhsa_exception_int_div_zero 0
	.end_amdhsa_kernel
	.section	.text._ZL13mm_ids_helperILi4EEvPKiPiS2_S2_iiiii,"axG",@progbits,_ZL13mm_ids_helperILi4EEvPKiPiS2_S2_iiiii,comdat
.Lfunc_end1:
	.size	_ZL13mm_ids_helperILi4EEvPKiPiS2_S2_iiiii, .Lfunc_end1-_ZL13mm_ids_helperILi4EEvPKiPiS2_S2_iiiii
                                        ; -- End function
	.set _ZL13mm_ids_helperILi4EEvPKiPiS2_S2_iiiii.num_vgpr, 34
	.set _ZL13mm_ids_helperILi4EEvPKiPiS2_S2_iiiii.num_agpr, 0
	.set _ZL13mm_ids_helperILi4EEvPKiPiS2_S2_iiiii.numbered_sgpr, 50
	.set _ZL13mm_ids_helperILi4EEvPKiPiS2_S2_iiiii.num_named_barrier, 0
	.set _ZL13mm_ids_helperILi4EEvPKiPiS2_S2_iiiii.private_seg_size, 0
	.set _ZL13mm_ids_helperILi4EEvPKiPiS2_S2_iiiii.uses_vcc, 1
	.set _ZL13mm_ids_helperILi4EEvPKiPiS2_S2_iiiii.uses_flat_scratch, 0
	.set _ZL13mm_ids_helperILi4EEvPKiPiS2_S2_iiiii.has_dyn_sized_stack, 0
	.set _ZL13mm_ids_helperILi4EEvPKiPiS2_S2_iiiii.has_recursion, 0
	.set _ZL13mm_ids_helperILi4EEvPKiPiS2_S2_iiiii.has_indirect_call, 0
	.section	.AMDGPU.csdata,"",@progbits
; Kernel info:
; codeLenInByte = 1880
; TotalNumSgprs: 54
; NumVgprs: 34
; ScratchSize: 0
; MemoryBound: 0
; FloatMode: 240
; IeeeMode: 1
; LDSByteSize: 0 bytes/workgroup (compile time only)
; SGPRBlocks: 6
; VGPRBlocks: 8
; NumSGPRsForWavesPerEU: 54
; NumVGPRsForWavesPerEU: 34
; Occupancy: 7
; WaveLimiterHint : 0
; COMPUTE_PGM_RSRC2:SCRATCH_EN: 0
; COMPUTE_PGM_RSRC2:USER_SGPR: 6
; COMPUTE_PGM_RSRC2:TRAP_HANDLER: 0
; COMPUTE_PGM_RSRC2:TGID_X_EN: 1
; COMPUTE_PGM_RSRC2:TGID_Y_EN: 0
; COMPUTE_PGM_RSRC2:TGID_Z_EN: 0
; COMPUTE_PGM_RSRC2:TIDIG_COMP_CNT: 0
	.section	.text._ZL13mm_ids_helperILi6EEvPKiPiS2_S2_iiiii,"axG",@progbits,_ZL13mm_ids_helperILi6EEvPKiPiS2_S2_iiiii,comdat
	.globl	_ZL13mm_ids_helperILi6EEvPKiPiS2_S2_iiiii ; -- Begin function _ZL13mm_ids_helperILi6EEvPKiPiS2_S2_iiiii
	.p2align	8
	.type	_ZL13mm_ids_helperILi6EEvPKiPiS2_S2_iiiii,@function
_ZL13mm_ids_helperILi6EEvPKiPiS2_S2_iiiii: ; @_ZL13mm_ids_helperILi6EEvPKiPiS2_S2_iiiii
; %bb.0:
	s_load_dword s7, s[4:5], 0x20
	s_load_dwordx4 s[24:27], s[4:5], 0x28
	v_mbcnt_lo_u32_b32 v1, -1, 0
	s_waitcnt lgkmcnt(0)
	s_cmp_gt_i32 s7, 0
	s_cbranch_scc1 .LBB2_2
; %bb.1:
	v_mbcnt_hi_u32_b32 v4, -1, v1
	v_and_b32_e32 v8, 64, v4
	v_xor_b32_e32 v5, 4, v4
	v_xor_b32_e32 v6, 2, v4
	;; [unrolled: 1-line block ×3, first 2 shown]
	s_mov_b64 s[0:1], 0
	s_branch .LBB2_3
.LBB2_2:
	s_mov_b64 s[0:1], -1
                                        ; implicit-def: $vgpr4
                                        ; implicit-def: $vgpr8
                                        ; implicit-def: $vgpr5
                                        ; implicit-def: $vgpr6
                                        ; implicit-def: $vgpr7
.LBB2_3:
	s_load_dwordx4 s[28:31], s[4:5], 0x8
	s_load_dwordx2 s[22:23], s[4:5], 0x18
	v_mov_b32_e32 v9, 0
	s_andn2_b64 vcc, exec, s[0:1]
	v_mov_b32_e32 v3, 0
	s_cbranch_vccnz .LBB2_10
; %bb.4:
	v_mbcnt_hi_u32_b32 v4, -1, v1
	v_and_b32_e32 v1, 0x78, v4
	v_add_u32_e32 v1, 8, v1
	v_xor_b32_e32 v5, 4, v4
	v_cmp_lt_i32_e64 s[0:1], v5, v1
	v_xor_b32_e32 v6, 2, v4
	v_cndmask_b32_e64 v3, v4, v5, s[0:1]
	v_cmp_lt_i32_e64 s[0:1], v6, v1
	v_xor_b32_e32 v7, 1, v4
	v_lshlrev_b32_e32 v11, 2, v3
	v_cndmask_b32_e64 v3, v4, v6, s[0:1]
	v_cmp_lt_i32_e64 s[0:1], v7, v1
	v_cndmask_b32_e64 v1, v4, v7, s[0:1]
	v_lshlrev_b32_e32 v13, 2, v1
	v_bfrev_b32_e32 v1, 0.5
	v_and_b32_e32 v8, 64, v4
	v_lshl_or_b32 v14, v4, 2, v1
	v_add_u32_e32 v1, -8, v4
	v_cmp_lt_i32_e64 s[0:1], v1, v8
	v_cndmask_b32_e64 v1, v1, v4, s[0:1]
	v_lshlrev_b32_e32 v15, 2, v1
	v_add_u32_e32 v1, -16, v4
	v_cmp_lt_i32_e64 s[2:3], v1, v8
	v_cndmask_b32_e64 v1, v1, v4, s[2:3]
	v_lshlrev_b32_e32 v16, 2, v1
	v_subrev_u32_e32 v1, 24, v4
	v_cmp_lt_i32_e64 s[8:9], v1, v8
	v_cndmask_b32_e64 v1, v1, v4, s[8:9]
	v_lshlrev_b32_e32 v17, 2, v1
	v_subrev_u32_e32 v1, 32, v4
	;; [unrolled: 4-line block ×5, first 2 shown]
	v_cmp_lt_i32_e64 s[16:17], v1, v8
	s_load_dwordx2 s[34:35], s[4:5], 0x0
	v_lshrrev_b32_e32 v10, 3, v0
	v_and_b32_e32 v2, 7, v0
	v_cndmask_b32_e64 v1, v1, v4, s[16:17]
	v_cmp_gt_u32_e32 vcc, 6, v2
	v_lshlrev_b32_e32 v21, 2, v1
	v_lshlrev_b32_e32 v22, 22, v2
	v_mad_u64_u32 v[1:2], s[18:19], s25, v10, v[2:3]
	v_lshlrev_b32_e32 v12, 2, v3
	v_cmp_gt_u32_e64 s[0:1], 8, v0
	v_cmp_gt_u32_e64 s[2:3], 16, v0
	;; [unrolled: 1-line block ×7, first 2 shown]
	s_lshl_b32 s25, s25, 3
	s_mov_b32 s27, 0
	s_mov_b32 s33, 0x3fffff
	v_mov_b32_e32 v9, 0
	v_mov_b32_e32 v3, 0
	s_branch .LBB2_6
.LBB2_5:                                ;   in Loop: Header=BB2_6 Depth=1
	s_or_b64 exec, exec, s[20:21]
	v_add_u32_e32 v23, v25, v24
	ds_bpermute_b32 v23, v14, v23
	v_cmp_gt_i32_e64 s[18:19], s6, v2
	s_add_i32 s27, s27, 8
	v_addc_co_u32_e64 v9, s[18:19], 0, v9, s[18:19]
	s_waitcnt lgkmcnt(0)
	v_add_u32_e32 v3, v23, v3
	s_cmp_ge_i32 s27, s7
	v_add_u32_e32 v1, s25, v1
	s_cbranch_scc1 .LBB2_10
.LBB2_6:                                ; =>This Inner Loop Header: Depth=1
	v_add_u32_e32 v23, s27, v10
	v_cmp_gt_i32_e64 s[18:19], s7, v23
	s_and_b64 s[18:19], vcc, s[18:19]
	v_bfrev_b32_e32 v2, -2
	s_and_saveexec_b64 s[20:21], s[18:19]
	s_cbranch_execz .LBB2_8
; %bb.7:                                ;   in Loop: Header=BB2_6 Depth=1
	v_ashrrev_i32_e32 v2, 31, v1
	v_lshlrev_b64 v[24:25], 2, v[1:2]
	s_waitcnt lgkmcnt(0)
	v_mov_b32_e32 v2, s35
	v_add_co_u32_e64 v24, s[18:19], s34, v24
	v_addc_co_u32_e64 v25, s[18:19], v2, v25, s[18:19]
	global_load_dword v2, v[24:25], off
.LBB2_8:                                ;   in Loop: Header=BB2_6 Depth=1
	s_or_b64 exec, exec, s[20:21]
	s_waitcnt vmcnt(0)
	v_cmp_eq_u32_e64 s[18:19], s6, v2
	v_cndmask_b32_e64 v24, 0, 1, s[18:19]
	ds_bpermute_b32 v25, v11, v24
	s_waitcnt lgkmcnt(0)
	v_or_b32_e32 v24, v25, v24
	v_cmp_ne_u32_e64 s[20:21], 0, v24
	v_cndmask_b32_e64 v25, 0, 1, s[20:21]
	ds_bpermute_b32 v25, v12, v25
	s_waitcnt lgkmcnt(0)
	v_or_b32_e32 v24, v25, v24
	v_cmp_ne_u32_e64 s[20:21], 0, v24
	;; [unrolled: 5-line block ×3, first 2 shown]
	v_cndmask_b32_e64 v24, 0, 1, s[20:21]
	ds_bpermute_b32 v25, v15, v24
	ds_bpermute_b32 v26, v16, v24
	;; [unrolled: 1-line block ×5, first 2 shown]
	s_waitcnt lgkmcnt(4)
	v_cndmask_b32_e64 v25, v25, 0, s[0:1]
	s_waitcnt lgkmcnt(3)
	v_cndmask_b32_e64 v26, v26, 0, s[2:3]
	;; [unrolled: 2-line block ×3, first 2 shown]
	v_add3_u32 v25, v26, v25, v27
	ds_bpermute_b32 v26, v20, v24
	ds_bpermute_b32 v27, v21, v24
	s_waitcnt lgkmcnt(3)
	v_cndmask_b32_e64 v28, v28, 0, s[10:11]
	s_waitcnt lgkmcnt(2)
	v_cndmask_b32_e64 v29, v29, 0, s[12:13]
	v_add3_u32 v25, v28, v25, v29
	s_waitcnt lgkmcnt(1)
	v_cndmask_b32_e64 v26, v26, 0, s[14:15]
	s_waitcnt lgkmcnt(0)
	v_cndmask_b32_e64 v27, v27, 0, s[16:17]
	v_add3_u32 v25, v26, v25, v27
	s_and_saveexec_b64 s[20:21], s[18:19]
	s_cbranch_execz .LBB2_5
; %bb.9:                                ;   in Loop: Header=BB2_6 Depth=1
	v_lshlrev_b32_e32 v26, 2, v3
	v_lshlrev_b32_e32 v27, 2, v25
	v_add3_u32 v26, 0, v26, v27
	v_and_or_b32 v23, v23, s33, v22
	ds_write_b32 v26, v23
	s_branch .LBB2_5
.LBB2_10:
	v_add_u32_e32 v12, 64, v8
	v_xor_b32_e32 v1, 32, v4
	v_cmp_lt_i32_e32 vcc, v1, v12
	v_cndmask_b32_e32 v1, v4, v1, vcc
	v_lshlrev_b32_e32 v1, 2, v1
	ds_bpermute_b32 v1, v1, v9
	v_xor_b32_e32 v2, 16, v4
	v_cmp_lt_i32_e32 vcc, v2, v12
	v_cndmask_b32_e32 v2, v4, v2, vcc
	v_lshlrev_b32_e32 v2, 2, v2
	s_waitcnt lgkmcnt(0)
	v_add_u32_e32 v8, v1, v9
	ds_bpermute_b32 v2, v2, v8
	v_xor_b32_e32 v10, 8, v4
	v_cmp_lt_i32_e32 vcc, v10, v12
	s_waitcnt lgkmcnt(0)
	v_add_u32_e32 v11, v2, v8
	v_cndmask_b32_e32 v8, v4, v10, vcc
	v_lshlrev_b32_e32 v8, 2, v8
	ds_bpermute_b32 v8, v8, v11
	v_cmp_lt_i32_e32 vcc, v5, v12
	v_cndmask_b32_e32 v5, v4, v5, vcc
	v_lshlrev_b32_e32 v5, 2, v5
	v_cmp_lt_i32_e32 vcc, v6, v12
	s_waitcnt lgkmcnt(0)
	v_add_u32_e32 v11, v8, v11
	ds_bpermute_b32 v10, v5, v11
	v_cndmask_b32_e32 v5, v4, v6, vcc
	v_lshlrev_b32_e32 v5, 2, v5
	v_cmp_lt_i32_e32 vcc, v7, v12
	s_waitcnt lgkmcnt(0)
	v_add_u32_e32 v6, v10, v11
	ds_bpermute_b32 v11, v5, v6
	;; [unrolled: 6-line block ×3, first 2 shown]
	s_and_saveexec_b64 s[2:3], vcc
	s_cbranch_execz .LBB2_13
; %bb.11:
	s_abs_i32 s7, s24
	v_cvt_f32_u32_e32 v6, s7
	s_sub_i32 s0, 0, s7
	v_add_u32_e32 v1, v1, v2
	v_add3_u32 v1, v1, v8, v10
	v_rcp_iflag_f32_e32 v6, v6
	s_waitcnt lgkmcnt(0)
	v_add3_u32 v1, v1, v11, v5
	s_mov_b64 s[8:9], 0
	v_add3_u32 v1, v1, v0, v9
	v_mul_f32_e32 v6, 0x4f7ffffe, v6
	v_cvt_u32_f32_e32 v7, v6
	v_lshl_add_u32 v6, v0, 2, 0
	v_mov_b32_e32 v8, v0
	v_mul_lo_u32 v12, s0, v7
	v_mul_hi_u32 v2, v7, v12
	v_add_u32_e32 v7, v7, v2
.LBB2_12:                               ; =>This Inner Loop Header: Depth=1
	ds_read_b32 v13, v6
	v_ashrrev_i32_e32 v2, 31, v1
	v_lshlrev_b64 v[9:10], 2, v[1:2]
	v_add_u32_e32 v8, 64, v8
	v_cmp_ge_i32_e32 vcc, v8, v3
	s_waitcnt lgkmcnt(0)
	v_lshrrev_b32_e32 v17, 22, v13
	v_mul_hi_u32 v2, v17, v7
	v_and_b32_e32 v16, 0x3fffff, v13
	v_mov_b32_e32 v12, s29
	s_or_b64 s[8:9], vcc, s[8:9]
	v_mul_lo_u32 v2, v2, s7
	v_add_co_u32_e32 v11, vcc, s28, v9
	v_addc_co_u32_e32 v12, vcc, v12, v10, vcc
	v_sub_u32_e32 v2, v17, v2
	v_subrev_u32_e32 v13, s7, v2
	v_cmp_le_u32_e64 s[0:1], s7, v2
	v_cndmask_b32_e64 v2, v2, v13, s[0:1]
	v_subrev_u32_e32 v13, s7, v2
	v_cmp_le_u32_e64 s[0:1], s7, v2
	v_cndmask_b32_e64 v2, v2, v13, s[0:1]
	v_mad_u64_u32 v[13:14], s[0:1], v16, s26, v[2:3]
	v_mov_b32_e32 v15, s31
	v_add_co_u32_e32 v9, vcc, s30, v9
	v_add_u32_e32 v6, 0x100, v6
	v_add_u32_e32 v1, 64, v1
	v_addc_co_u32_e32 v10, vcc, v15, v10, vcc
	v_mad_u32_u24 v2, v16, 6, v17
	global_store_dword v[9:10], v2, off
	global_store_dword v[11:12], v13, off
	s_andn2_b64 exec, exec, s[8:9]
	s_cbranch_execnz .LBB2_12
.LBB2_13:
	s_or_b64 exec, exec, s[2:3]
	v_cmp_eq_u32_e32 vcc, 0, v0
	s_and_saveexec_b64 s[0:1], vcc
	s_cbranch_execz .LBB2_16
; %bb.14:
	s_load_dword s0, s[4:5], 0x38
	s_ashr_i32 s7, s6, 31
	s_lshl_b64 s[2:3], s[6:7], 2
	s_add_u32 s2, s22, s2
	s_addc_u32 s3, s23, s3
	s_waitcnt lgkmcnt(0)
	s_add_i32 s1, s0, -1
	v_add_u32_e32 v0, v5, v4
	v_mov_b32_e32 v1, 0
	s_cmp_lt_i32 s6, s1
	global_store_dword v1, v0, s[2:3]
	s_cbranch_scc1 .LBB2_16
; %bb.15:
	s_mov_b32 s1, 0
	s_lshl_b64 s[0:1], s[0:1], 2
	s_add_u32 s0, s22, s0
	s_addc_u32 s1, s23, s1
	v_add_u32_e32 v0, v0, v3
	global_store_dword v1, v0, s[0:1]
.LBB2_16:
	s_endpgm
	.section	.rodata,"a",@progbits
	.p2align	6, 0x0
	.amdhsa_kernel _ZL13mm_ids_helperILi6EEvPKiPiS2_S2_iiiii
		.amdhsa_group_segment_fixed_size 0
		.amdhsa_private_segment_fixed_size 0
		.amdhsa_kernarg_size 312
		.amdhsa_user_sgpr_count 6
		.amdhsa_user_sgpr_private_segment_buffer 1
		.amdhsa_user_sgpr_dispatch_ptr 0
		.amdhsa_user_sgpr_queue_ptr 0
		.amdhsa_user_sgpr_kernarg_segment_ptr 1
		.amdhsa_user_sgpr_dispatch_id 0
		.amdhsa_user_sgpr_flat_scratch_init 0
		.amdhsa_user_sgpr_private_segment_size 0
		.amdhsa_uses_dynamic_stack 0
		.amdhsa_system_sgpr_private_segment_wavefront_offset 0
		.amdhsa_system_sgpr_workgroup_id_x 1
		.amdhsa_system_sgpr_workgroup_id_y 0
		.amdhsa_system_sgpr_workgroup_id_z 0
		.amdhsa_system_sgpr_workgroup_info 0
		.amdhsa_system_vgpr_workitem_id 0
		.amdhsa_next_free_vgpr 30
		.amdhsa_next_free_sgpr 36
		.amdhsa_reserve_vcc 1
		.amdhsa_reserve_flat_scratch 0
		.amdhsa_float_round_mode_32 0
		.amdhsa_float_round_mode_16_64 0
		.amdhsa_float_denorm_mode_32 3
		.amdhsa_float_denorm_mode_16_64 3
		.amdhsa_dx10_clamp 1
		.amdhsa_ieee_mode 1
		.amdhsa_fp16_overflow 0
		.amdhsa_exception_fp_ieee_invalid_op 0
		.amdhsa_exception_fp_denorm_src 0
		.amdhsa_exception_fp_ieee_div_zero 0
		.amdhsa_exception_fp_ieee_overflow 0
		.amdhsa_exception_fp_ieee_underflow 0
		.amdhsa_exception_fp_ieee_inexact 0
		.amdhsa_exception_int_div_zero 0
	.end_amdhsa_kernel
	.section	.text._ZL13mm_ids_helperILi6EEvPKiPiS2_S2_iiiii,"axG",@progbits,_ZL13mm_ids_helperILi6EEvPKiPiS2_S2_iiiii,comdat
.Lfunc_end2:
	.size	_ZL13mm_ids_helperILi6EEvPKiPiS2_S2_iiiii, .Lfunc_end2-_ZL13mm_ids_helperILi6EEvPKiPiS2_S2_iiiii
                                        ; -- End function
	.set _ZL13mm_ids_helperILi6EEvPKiPiS2_S2_iiiii.num_vgpr, 30
	.set _ZL13mm_ids_helperILi6EEvPKiPiS2_S2_iiiii.num_agpr, 0
	.set _ZL13mm_ids_helperILi6EEvPKiPiS2_S2_iiiii.numbered_sgpr, 36
	.set _ZL13mm_ids_helperILi6EEvPKiPiS2_S2_iiiii.num_named_barrier, 0
	.set _ZL13mm_ids_helperILi6EEvPKiPiS2_S2_iiiii.private_seg_size, 0
	.set _ZL13mm_ids_helperILi6EEvPKiPiS2_S2_iiiii.uses_vcc, 1
	.set _ZL13mm_ids_helperILi6EEvPKiPiS2_S2_iiiii.uses_flat_scratch, 0
	.set _ZL13mm_ids_helperILi6EEvPKiPiS2_S2_iiiii.has_dyn_sized_stack, 0
	.set _ZL13mm_ids_helperILi6EEvPKiPiS2_S2_iiiii.has_recursion, 0
	.set _ZL13mm_ids_helperILi6EEvPKiPiS2_S2_iiiii.has_indirect_call, 0
	.section	.AMDGPU.csdata,"",@progbits
; Kernel info:
; codeLenInByte = 1524
; TotalNumSgprs: 40
; NumVgprs: 30
; ScratchSize: 0
; MemoryBound: 0
; FloatMode: 240
; IeeeMode: 1
; LDSByteSize: 0 bytes/workgroup (compile time only)
; SGPRBlocks: 4
; VGPRBlocks: 7
; NumSGPRsForWavesPerEU: 40
; NumVGPRsForWavesPerEU: 30
; Occupancy: 8
; WaveLimiterHint : 0
; COMPUTE_PGM_RSRC2:SCRATCH_EN: 0
; COMPUTE_PGM_RSRC2:USER_SGPR: 6
; COMPUTE_PGM_RSRC2:TRAP_HANDLER: 0
; COMPUTE_PGM_RSRC2:TGID_X_EN: 1
; COMPUTE_PGM_RSRC2:TGID_Y_EN: 0
; COMPUTE_PGM_RSRC2:TGID_Z_EN: 0
; COMPUTE_PGM_RSRC2:TIDIG_COMP_CNT: 0
	.section	.text._ZL13mm_ids_helperILi8EEvPKiPiS2_S2_iiiii,"axG",@progbits,_ZL13mm_ids_helperILi8EEvPKiPiS2_S2_iiiii,comdat
	.globl	_ZL13mm_ids_helperILi8EEvPKiPiS2_S2_iiiii ; -- Begin function _ZL13mm_ids_helperILi8EEvPKiPiS2_S2_iiiii
	.p2align	8
	.type	_ZL13mm_ids_helperILi8EEvPKiPiS2_S2_iiiii,@function
_ZL13mm_ids_helperILi8EEvPKiPiS2_S2_iiiii: ; @_ZL13mm_ids_helperILi8EEvPKiPiS2_S2_iiiii
; %bb.0:
	s_load_dword s7, s[4:5], 0x20
	s_load_dwordx4 s[20:23], s[4:5], 0x28
	v_mbcnt_lo_u32_b32 v1, -1, 0
	s_waitcnt lgkmcnt(0)
	s_cmp_gt_i32 s7, 0
	s_cbranch_scc1 .LBB3_2
; %bb.1:
	v_mbcnt_hi_u32_b32 v4, -1, v1
	v_and_b32_e32 v8, 64, v4
	v_xor_b32_e32 v5, 4, v4
	v_xor_b32_e32 v6, 2, v4
	;; [unrolled: 1-line block ×3, first 2 shown]
	s_mov_b64 s[0:1], 0
	s_branch .LBB3_3
.LBB3_2:
	s_mov_b64 s[0:1], -1
                                        ; implicit-def: $vgpr4
                                        ; implicit-def: $vgpr8
                                        ; implicit-def: $vgpr5
                                        ; implicit-def: $vgpr6
                                        ; implicit-def: $vgpr7
.LBB3_3:
	s_load_dwordx4 s[24:27], s[4:5], 0x8
	s_load_dwordx2 s[28:29], s[4:5], 0x18
	v_mov_b32_e32 v9, 0
	s_andn2_b64 vcc, exec, s[0:1]
	v_mov_b32_e32 v3, 0
	s_cbranch_vccnz .LBB3_10
; %bb.4:
	v_mbcnt_hi_u32_b32 v4, -1, v1
	v_and_b32_e32 v1, 0x78, v4
	v_add_u32_e32 v1, 8, v1
	v_xor_b32_e32 v5, 4, v4
	v_cmp_lt_i32_e32 vcc, v5, v1
	v_xor_b32_e32 v6, 2, v4
	v_cndmask_b32_e32 v3, v4, v5, vcc
	v_cmp_lt_i32_e32 vcc, v6, v1
	v_xor_b32_e32 v7, 1, v4
	v_lshlrev_b32_e32 v11, 2, v3
	v_cndmask_b32_e32 v3, v4, v6, vcc
	v_cmp_lt_i32_e32 vcc, v7, v1
	v_cndmask_b32_e32 v1, v4, v7, vcc
	v_lshlrev_b32_e32 v13, 2, v1
	v_bfrev_b32_e32 v1, 0.5
	v_and_b32_e32 v8, 64, v4
	v_lshl_or_b32 v14, v4, 2, v1
	v_add_u32_e32 v1, -8, v4
	v_cmp_lt_i32_e32 vcc, v1, v8
	v_cndmask_b32_e32 v1, v1, v4, vcc
	v_lshlrev_b32_e32 v15, 2, v1
	v_add_u32_e32 v1, -16, v4
	v_cmp_lt_i32_e64 s[0:1], v1, v8
	v_cndmask_b32_e64 v1, v1, v4, s[0:1]
	v_lshlrev_b32_e32 v16, 2, v1
	v_subrev_u32_e32 v1, 24, v4
	v_cmp_lt_i32_e64 s[2:3], v1, v8
	v_cndmask_b32_e64 v1, v1, v4, s[2:3]
	v_lshlrev_b32_e32 v17, 2, v1
	v_subrev_u32_e32 v1, 32, v4
	;; [unrolled: 4-line block ×5, first 2 shown]
	v_cmp_lt_i32_e64 s[14:15], v1, v8
	s_load_dwordx2 s[30:31], s[4:5], 0x0
	v_lshrrev_b32_e32 v10, 3, v0
	v_and_b32_e32 v2, 7, v0
	v_cndmask_b32_e64 v1, v1, v4, s[14:15]
	v_lshlrev_b32_e32 v21, 2, v1
	v_lshlrev_b32_e32 v22, 22, v2
	v_mad_u64_u32 v[1:2], s[16:17], s21, v10, v[2:3]
	v_lshlrev_b32_e32 v12, 2, v3
	v_cmp_gt_u32_e32 vcc, 8, v0
	v_cmp_gt_u32_e64 s[0:1], 16, v0
	v_cmp_gt_u32_e64 s[2:3], 24, v0
	;; [unrolled: 1-line block ×6, first 2 shown]
	s_lshl_b32 s21, s21, 3
	s_mov_b32 s23, 0
	s_mov_b32 s33, 0x3fffff
	v_mov_b32_e32 v9, 0
	v_mov_b32_e32 v3, 0
	s_branch .LBB3_6
.LBB3_5:                                ;   in Loop: Header=BB3_6 Depth=1
	s_or_b64 exec, exec, s[18:19]
	v_add_u32_e32 v23, v25, v24
	ds_bpermute_b32 v23, v14, v23
	v_cmp_gt_i32_e64 s[16:17], s6, v2
	s_add_i32 s23, s23, 8
	v_addc_co_u32_e64 v9, s[16:17], 0, v9, s[16:17]
	s_waitcnt lgkmcnt(0)
	v_add_u32_e32 v3, v23, v3
	s_cmp_ge_i32 s23, s7
	v_add_u32_e32 v1, s21, v1
	s_cbranch_scc1 .LBB3_10
.LBB3_6:                                ; =>This Inner Loop Header: Depth=1
	v_add_u32_e32 v23, s23, v10
	v_cmp_gt_i32_e64 s[16:17], s7, v23
	v_bfrev_b32_e32 v2, -2
	s_and_saveexec_b64 s[18:19], s[16:17]
	s_cbranch_execz .LBB3_8
; %bb.7:                                ;   in Loop: Header=BB3_6 Depth=1
	v_ashrrev_i32_e32 v2, 31, v1
	v_lshlrev_b64 v[24:25], 2, v[1:2]
	s_waitcnt lgkmcnt(0)
	v_mov_b32_e32 v2, s31
	v_add_co_u32_e64 v24, s[16:17], s30, v24
	v_addc_co_u32_e64 v25, s[16:17], v2, v25, s[16:17]
	global_load_dword v2, v[24:25], off
.LBB3_8:                                ;   in Loop: Header=BB3_6 Depth=1
	s_or_b64 exec, exec, s[18:19]
	s_waitcnt vmcnt(0)
	v_cmp_eq_u32_e64 s[16:17], s6, v2
	v_cndmask_b32_e64 v24, 0, 1, s[16:17]
	ds_bpermute_b32 v25, v11, v24
	s_waitcnt lgkmcnt(0)
	v_or_b32_e32 v24, v25, v24
	v_cmp_ne_u32_e64 s[18:19], 0, v24
	v_cndmask_b32_e64 v25, 0, 1, s[18:19]
	ds_bpermute_b32 v25, v12, v25
	s_waitcnt lgkmcnt(0)
	v_or_b32_e32 v24, v25, v24
	v_cmp_ne_u32_e64 s[18:19], 0, v24
	;; [unrolled: 5-line block ×3, first 2 shown]
	v_cndmask_b32_e64 v24, 0, 1, s[18:19]
	ds_bpermute_b32 v25, v15, v24
	ds_bpermute_b32 v26, v16, v24
	;; [unrolled: 1-line block ×5, first 2 shown]
	s_waitcnt lgkmcnt(4)
	v_cndmask_b32_e64 v25, v25, 0, vcc
	s_waitcnt lgkmcnt(3)
	v_cndmask_b32_e64 v26, v26, 0, s[0:1]
	s_waitcnt lgkmcnt(2)
	v_cndmask_b32_e64 v27, v27, 0, s[2:3]
	v_add3_u32 v25, v26, v25, v27
	ds_bpermute_b32 v26, v20, v24
	ds_bpermute_b32 v27, v21, v24
	s_waitcnt lgkmcnt(3)
	v_cndmask_b32_e64 v28, v28, 0, s[8:9]
	s_waitcnt lgkmcnt(2)
	v_cndmask_b32_e64 v29, v29, 0, s[10:11]
	v_add3_u32 v25, v28, v25, v29
	s_waitcnt lgkmcnt(1)
	v_cndmask_b32_e64 v26, v26, 0, s[12:13]
	s_waitcnt lgkmcnt(0)
	v_cndmask_b32_e64 v27, v27, 0, s[14:15]
	v_add3_u32 v25, v26, v25, v27
	s_and_saveexec_b64 s[18:19], s[16:17]
	s_cbranch_execz .LBB3_5
; %bb.9:                                ;   in Loop: Header=BB3_6 Depth=1
	v_lshlrev_b32_e32 v26, 2, v3
	v_lshlrev_b32_e32 v27, 2, v25
	v_add3_u32 v26, 0, v26, v27
	v_and_or_b32 v23, v23, s33, v22
	ds_write_b32 v26, v23
	s_branch .LBB3_5
.LBB3_10:
	v_add_u32_e32 v12, 64, v8
	v_xor_b32_e32 v1, 32, v4
	v_cmp_lt_i32_e32 vcc, v1, v12
	v_cndmask_b32_e32 v1, v4, v1, vcc
	v_lshlrev_b32_e32 v1, 2, v1
	ds_bpermute_b32 v1, v1, v9
	v_xor_b32_e32 v2, 16, v4
	v_cmp_lt_i32_e32 vcc, v2, v12
	v_cndmask_b32_e32 v2, v4, v2, vcc
	v_lshlrev_b32_e32 v2, 2, v2
	s_waitcnt lgkmcnt(0)
	v_add_u32_e32 v8, v1, v9
	ds_bpermute_b32 v2, v2, v8
	v_xor_b32_e32 v10, 8, v4
	v_cmp_lt_i32_e32 vcc, v10, v12
	s_waitcnt lgkmcnt(0)
	v_add_u32_e32 v11, v2, v8
	v_cndmask_b32_e32 v8, v4, v10, vcc
	v_lshlrev_b32_e32 v8, 2, v8
	ds_bpermute_b32 v8, v8, v11
	v_cmp_lt_i32_e32 vcc, v5, v12
	v_cndmask_b32_e32 v5, v4, v5, vcc
	v_lshlrev_b32_e32 v5, 2, v5
	v_cmp_lt_i32_e32 vcc, v6, v12
	s_waitcnt lgkmcnt(0)
	v_add_u32_e32 v11, v8, v11
	ds_bpermute_b32 v10, v5, v11
	v_cndmask_b32_e32 v5, v4, v6, vcc
	v_lshlrev_b32_e32 v5, 2, v5
	v_cmp_lt_i32_e32 vcc, v7, v12
	s_waitcnt lgkmcnt(0)
	v_add_u32_e32 v6, v10, v11
	ds_bpermute_b32 v11, v5, v6
	;; [unrolled: 6-line block ×3, first 2 shown]
	s_and_saveexec_b64 s[2:3], vcc
	s_cbranch_execz .LBB3_13
; %bb.11:
	s_abs_i32 s7, s20
	v_cvt_f32_u32_e32 v6, s7
	s_sub_i32 s0, 0, s7
	v_add_u32_e32 v1, v1, v2
	v_add3_u32 v1, v1, v8, v10
	v_rcp_iflag_f32_e32 v6, v6
	s_waitcnt lgkmcnt(0)
	v_add3_u32 v1, v1, v11, v5
	s_mov_b64 s[8:9], 0
	v_add3_u32 v1, v1, v0, v9
	v_mul_f32_e32 v6, 0x4f7ffffe, v6
	v_cvt_u32_f32_e32 v7, v6
	v_lshl_add_u32 v6, v0, 2, 0
	v_mov_b32_e32 v8, v0
	v_mul_lo_u32 v12, s0, v7
	v_mul_hi_u32 v2, v7, v12
	v_add_u32_e32 v7, v7, v2
.LBB3_12:                               ; =>This Inner Loop Header: Depth=1
	ds_read_b32 v13, v6
	v_ashrrev_i32_e32 v2, 31, v1
	v_lshlrev_b64 v[9:10], 2, v[1:2]
	v_add_u32_e32 v8, 64, v8
	v_cmp_ge_i32_e32 vcc, v8, v3
	s_waitcnt lgkmcnt(0)
	v_lshrrev_b32_e32 v17, 22, v13
	v_mul_hi_u32 v2, v17, v7
	v_and_b32_e32 v16, 0x3fffff, v13
	v_mov_b32_e32 v12, s25
	s_or_b64 s[8:9], vcc, s[8:9]
	v_mul_lo_u32 v2, v2, s7
	v_add_co_u32_e32 v11, vcc, s24, v9
	v_addc_co_u32_e32 v12, vcc, v12, v10, vcc
	v_sub_u32_e32 v2, v17, v2
	v_subrev_u32_e32 v13, s7, v2
	v_cmp_le_u32_e64 s[0:1], s7, v2
	v_cndmask_b32_e64 v2, v2, v13, s[0:1]
	v_subrev_u32_e32 v13, s7, v2
	v_cmp_le_u32_e64 s[0:1], s7, v2
	v_cndmask_b32_e64 v2, v2, v13, s[0:1]
	v_mad_u64_u32 v[13:14], s[0:1], v16, s22, v[2:3]
	v_mov_b32_e32 v15, s27
	v_add_co_u32_e32 v9, vcc, s26, v9
	v_add_u32_e32 v6, 0x100, v6
	v_add_u32_e32 v1, 64, v1
	v_addc_co_u32_e32 v10, vcc, v15, v10, vcc
	v_lshl_add_u32 v2, v16, 3, v17
	global_store_dword v[9:10], v2, off
	global_store_dword v[11:12], v13, off
	s_andn2_b64 exec, exec, s[8:9]
	s_cbranch_execnz .LBB3_12
.LBB3_13:
	s_or_b64 exec, exec, s[2:3]
	v_cmp_eq_u32_e32 vcc, 0, v0
	s_and_saveexec_b64 s[0:1], vcc
	s_cbranch_execz .LBB3_16
; %bb.14:
	s_load_dword s0, s[4:5], 0x38
	s_ashr_i32 s7, s6, 31
	s_lshl_b64 s[2:3], s[6:7], 2
	s_add_u32 s2, s28, s2
	s_addc_u32 s3, s29, s3
	s_waitcnt lgkmcnt(0)
	s_add_i32 s1, s0, -1
	v_add_u32_e32 v0, v5, v4
	v_mov_b32_e32 v1, 0
	s_cmp_lt_i32 s6, s1
	global_store_dword v1, v0, s[2:3]
	s_cbranch_scc1 .LBB3_16
; %bb.15:
	s_mov_b32 s1, 0
	s_lshl_b64 s[0:1], s[0:1], 2
	s_add_u32 s0, s28, s0
	s_addc_u32 s1, s29, s1
	v_add_u32_e32 v0, v0, v3
	global_store_dword v1, v0, s[0:1]
.LBB3_16:
	s_endpgm
	.section	.rodata,"a",@progbits
	.p2align	6, 0x0
	.amdhsa_kernel _ZL13mm_ids_helperILi8EEvPKiPiS2_S2_iiiii
		.amdhsa_group_segment_fixed_size 0
		.amdhsa_private_segment_fixed_size 0
		.amdhsa_kernarg_size 312
		.amdhsa_user_sgpr_count 6
		.amdhsa_user_sgpr_private_segment_buffer 1
		.amdhsa_user_sgpr_dispatch_ptr 0
		.amdhsa_user_sgpr_queue_ptr 0
		.amdhsa_user_sgpr_kernarg_segment_ptr 1
		.amdhsa_user_sgpr_dispatch_id 0
		.amdhsa_user_sgpr_flat_scratch_init 0
		.amdhsa_user_sgpr_private_segment_size 0
		.amdhsa_uses_dynamic_stack 0
		.amdhsa_system_sgpr_private_segment_wavefront_offset 0
		.amdhsa_system_sgpr_workgroup_id_x 1
		.amdhsa_system_sgpr_workgroup_id_y 0
		.amdhsa_system_sgpr_workgroup_id_z 0
		.amdhsa_system_sgpr_workgroup_info 0
		.amdhsa_system_vgpr_workitem_id 0
		.amdhsa_next_free_vgpr 30
		.amdhsa_next_free_sgpr 34
		.amdhsa_reserve_vcc 1
		.amdhsa_reserve_flat_scratch 0
		.amdhsa_float_round_mode_32 0
		.amdhsa_float_round_mode_16_64 0
		.amdhsa_float_denorm_mode_32 3
		.amdhsa_float_denorm_mode_16_64 3
		.amdhsa_dx10_clamp 1
		.amdhsa_ieee_mode 1
		.amdhsa_fp16_overflow 0
		.amdhsa_exception_fp_ieee_invalid_op 0
		.amdhsa_exception_fp_denorm_src 0
		.amdhsa_exception_fp_ieee_div_zero 0
		.amdhsa_exception_fp_ieee_overflow 0
		.amdhsa_exception_fp_ieee_underflow 0
		.amdhsa_exception_fp_ieee_inexact 0
		.amdhsa_exception_int_div_zero 0
	.end_amdhsa_kernel
	.section	.text._ZL13mm_ids_helperILi8EEvPKiPiS2_S2_iiiii,"axG",@progbits,_ZL13mm_ids_helperILi8EEvPKiPiS2_S2_iiiii,comdat
.Lfunc_end3:
	.size	_ZL13mm_ids_helperILi8EEvPKiPiS2_S2_iiiii, .Lfunc_end3-_ZL13mm_ids_helperILi8EEvPKiPiS2_S2_iiiii
                                        ; -- End function
	.set _ZL13mm_ids_helperILi8EEvPKiPiS2_S2_iiiii.num_vgpr, 30
	.set _ZL13mm_ids_helperILi8EEvPKiPiS2_S2_iiiii.num_agpr, 0
	.set _ZL13mm_ids_helperILi8EEvPKiPiS2_S2_iiiii.numbered_sgpr, 34
	.set _ZL13mm_ids_helperILi8EEvPKiPiS2_S2_iiiii.num_named_barrier, 0
	.set _ZL13mm_ids_helperILi8EEvPKiPiS2_S2_iiiii.private_seg_size, 0
	.set _ZL13mm_ids_helperILi8EEvPKiPiS2_S2_iiiii.uses_vcc, 1
	.set _ZL13mm_ids_helperILi8EEvPKiPiS2_S2_iiiii.uses_flat_scratch, 0
	.set _ZL13mm_ids_helperILi8EEvPKiPiS2_S2_iiiii.has_dyn_sized_stack, 0
	.set _ZL13mm_ids_helperILi8EEvPKiPiS2_S2_iiiii.has_recursion, 0
	.set _ZL13mm_ids_helperILi8EEvPKiPiS2_S2_iiiii.has_indirect_call, 0
	.section	.AMDGPU.csdata,"",@progbits
; Kernel info:
; codeLenInByte = 1480
; TotalNumSgprs: 38
; NumVgprs: 30
; ScratchSize: 0
; MemoryBound: 0
; FloatMode: 240
; IeeeMode: 1
; LDSByteSize: 0 bytes/workgroup (compile time only)
; SGPRBlocks: 4
; VGPRBlocks: 7
; NumSGPRsForWavesPerEU: 38
; NumVGPRsForWavesPerEU: 30
; Occupancy: 8
; WaveLimiterHint : 0
; COMPUTE_PGM_RSRC2:SCRATCH_EN: 0
; COMPUTE_PGM_RSRC2:USER_SGPR: 6
; COMPUTE_PGM_RSRC2:TRAP_HANDLER: 0
; COMPUTE_PGM_RSRC2:TGID_X_EN: 1
; COMPUTE_PGM_RSRC2:TGID_Y_EN: 0
; COMPUTE_PGM_RSRC2:TGID_Z_EN: 0
; COMPUTE_PGM_RSRC2:TIDIG_COMP_CNT: 0
	.section	.text._ZL13mm_ids_helperILi16EEvPKiPiS2_S2_iiiii,"axG",@progbits,_ZL13mm_ids_helperILi16EEvPKiPiS2_S2_iiiii,comdat
	.globl	_ZL13mm_ids_helperILi16EEvPKiPiS2_S2_iiiii ; -- Begin function _ZL13mm_ids_helperILi16EEvPKiPiS2_S2_iiiii
	.p2align	8
	.type	_ZL13mm_ids_helperILi16EEvPKiPiS2_S2_iiiii,@function
_ZL13mm_ids_helperILi16EEvPKiPiS2_S2_iiiii: ; @_ZL13mm_ids_helperILi16EEvPKiPiS2_S2_iiiii
; %bb.0:
	s_load_dword s7, s[4:5], 0x20
	s_load_dwordx4 s[12:15], s[4:5], 0x28
	v_mbcnt_lo_u32_b32 v1, -1, 0
	s_waitcnt lgkmcnt(0)
	s_cmp_gt_i32 s7, 0
	s_cbranch_scc1 .LBB4_2
; %bb.1:
	v_mbcnt_hi_u32_b32 v4, -1, v1
	v_and_b32_e32 v10, 64, v4
	v_xor_b32_e32 v6, 8, v4
	v_xor_b32_e32 v7, 4, v4
	v_xor_b32_e32 v8, 2, v4
	v_xor_b32_e32 v9, 1, v4
	s_mov_b64 s[0:1], 0
	s_branch .LBB4_3
.LBB4_2:
	s_mov_b64 s[0:1], -1
                                        ; implicit-def: $vgpr4
                                        ; implicit-def: $vgpr10
                                        ; implicit-def: $vgpr6
                                        ; implicit-def: $vgpr7
                                        ; implicit-def: $vgpr8
                                        ; implicit-def: $vgpr9
.LBB4_3:
	s_load_dwordx4 s[16:19], s[4:5], 0x8
	s_load_dwordx2 s[20:21], s[4:5], 0x18
	v_mov_b32_e32 v5, 0
	s_andn2_b64 vcc, exec, s[0:1]
	v_mov_b32_e32 v3, 0
	s_cbranch_vccnz .LBB4_10
; %bb.4:
	v_mbcnt_hi_u32_b32 v4, -1, v1
	v_and_b32_e32 v1, 0x70, v4
	v_add_u32_e32 v1, 16, v1
	v_xor_b32_e32 v6, 8, v4
	v_cmp_lt_i32_e32 vcc, v6, v1
	v_xor_b32_e32 v7, 4, v4
	v_cndmask_b32_e32 v3, v4, v6, vcc
	v_cmp_lt_i32_e32 vcc, v7, v1
	v_xor_b32_e32 v8, 2, v4
	v_lshlrev_b32_e32 v12, 2, v3
	v_cndmask_b32_e32 v3, v4, v7, vcc
	v_cmp_lt_i32_e32 vcc, v8, v1
	v_xor_b32_e32 v9, 1, v4
	v_lshlrev_b32_e32 v13, 2, v3
	v_cndmask_b32_e32 v3, v4, v8, vcc
	v_cmp_lt_i32_e32 vcc, v9, v1
	v_cndmask_b32_e32 v1, v4, v9, vcc
	v_lshlrev_b32_e32 v15, 2, v1
	v_bfrev_b32_e32 v1, 0.5
	v_and_b32_e32 v10, 64, v4
	v_lshl_or_b32 v17, v4, 2, v1
	v_add_u32_e32 v1, -16, v4
	v_cmp_lt_i32_e32 vcc, v1, v10
	v_cndmask_b32_e32 v1, v1, v4, vcc
	v_lshlrev_b32_e32 v18, 2, v1
	v_subrev_u32_e32 v1, 32, v4
	v_cmp_lt_i32_e64 s[0:1], v1, v10
	v_cndmask_b32_e64 v1, v1, v4, s[0:1]
	v_lshlrev_b32_e32 v19, 2, v1
	v_subrev_u32_e32 v1, 48, v4
	v_cmp_lt_i32_e64 s[2:3], v1, v10
	s_load_dwordx2 s[22:23], s[4:5], 0x0
	v_lshrrev_b32_e32 v11, 4, v0
	v_and_b32_e32 v2, 15, v0
	v_cndmask_b32_e64 v1, v1, v4, s[2:3]
	v_lshlrev_b32_e32 v16, 22, v2
	v_lshlrev_b32_e32 v20, 2, v1
	v_mad_u64_u32 v[1:2], s[8:9], s13, v11, v[2:3]
	v_mov_b32_e32 v5, 0
	v_lshlrev_b32_e32 v14, 2, v3
	v_cmp_gt_u32_e32 vcc, 16, v0
	v_cmp_gt_u32_e64 s[0:1], 32, v0
	v_cmp_gt_u32_e64 s[2:3], 48, v0
	s_lshl_b32 s13, s13, 2
	s_mov_b32 s15, 0
	s_mov_b32 s24, 0x3fffff
	v_mov_b32_e32 v3, 0
	s_branch .LBB4_6
.LBB4_5:                                ;   in Loop: Header=BB4_6 Depth=1
	s_or_b64 exec, exec, s[10:11]
	v_add_u32_e32 v21, v23, v22
	ds_bpermute_b32 v21, v17, v21
	v_cmp_gt_i32_e64 s[8:9], s6, v2
	s_add_i32 s15, s15, 4
	v_addc_co_u32_e64 v5, s[8:9], 0, v5, s[8:9]
	s_waitcnt lgkmcnt(0)
	v_add_u32_e32 v3, v21, v3
	s_cmp_ge_i32 s15, s7
	v_add_u32_e32 v1, s13, v1
	s_cbranch_scc1 .LBB4_10
.LBB4_6:                                ; =>This Inner Loop Header: Depth=1
	v_add_u32_e32 v21, s15, v11
	v_cmp_gt_i32_e64 s[8:9], s7, v21
	v_bfrev_b32_e32 v2, -2
	s_and_saveexec_b64 s[10:11], s[8:9]
	s_cbranch_execz .LBB4_8
; %bb.7:                                ;   in Loop: Header=BB4_6 Depth=1
	v_ashrrev_i32_e32 v2, 31, v1
	v_lshlrev_b64 v[22:23], 2, v[1:2]
	s_waitcnt lgkmcnt(0)
	v_mov_b32_e32 v2, s23
	v_add_co_u32_e64 v22, s[8:9], s22, v22
	v_addc_co_u32_e64 v23, s[8:9], v2, v23, s[8:9]
	global_load_dword v2, v[22:23], off
.LBB4_8:                                ;   in Loop: Header=BB4_6 Depth=1
	s_or_b64 exec, exec, s[10:11]
	s_waitcnt vmcnt(0)
	v_cmp_eq_u32_e64 s[8:9], s6, v2
	v_cndmask_b32_e64 v22, 0, 1, s[8:9]
	ds_bpermute_b32 v23, v12, v22
	s_waitcnt lgkmcnt(0)
	v_or_b32_e32 v22, v23, v22
	v_cmp_ne_u32_e64 s[10:11], 0, v22
	v_cndmask_b32_e64 v23, 0, 1, s[10:11]
	ds_bpermute_b32 v23, v13, v23
	s_waitcnt lgkmcnt(0)
	v_or_b32_e32 v22, v23, v22
	v_cmp_ne_u32_e64 s[10:11], 0, v22
	;; [unrolled: 5-line block ×4, first 2 shown]
	v_cndmask_b32_e64 v22, 0, 1, s[10:11]
	ds_bpermute_b32 v23, v18, v22
	ds_bpermute_b32 v24, v19, v22
	;; [unrolled: 1-line block ×3, first 2 shown]
	s_waitcnt lgkmcnt(2)
	v_cndmask_b32_e64 v23, v23, 0, vcc
	s_waitcnt lgkmcnt(1)
	v_cndmask_b32_e64 v24, v24, 0, s[0:1]
	s_waitcnt lgkmcnt(0)
	v_cndmask_b32_e64 v25, v25, 0, s[2:3]
	v_add3_u32 v23, v24, v23, v25
	s_and_saveexec_b64 s[10:11], s[8:9]
	s_cbranch_execz .LBB4_5
; %bb.9:                                ;   in Loop: Header=BB4_6 Depth=1
	v_lshlrev_b32_e32 v24, 2, v3
	v_lshlrev_b32_e32 v25, 2, v23
	v_add3_u32 v24, 0, v24, v25
	v_and_or_b32 v21, v21, s24, v16
	ds_write_b32 v24, v21
	s_branch .LBB4_5
.LBB4_10:
	v_add_u32_e32 v12, 64, v10
	v_xor_b32_e32 v1, 32, v4
	v_cmp_lt_i32_e32 vcc, v1, v12
	v_cndmask_b32_e32 v1, v4, v1, vcc
	v_lshlrev_b32_e32 v1, 2, v1
	ds_bpermute_b32 v1, v1, v5
	v_xor_b32_e32 v2, 16, v4
	v_cmp_lt_i32_e32 vcc, v2, v12
	v_cndmask_b32_e32 v2, v4, v2, vcc
	v_lshlrev_b32_e32 v2, 2, v2
	s_waitcnt lgkmcnt(0)
	v_add_u32_e32 v11, v1, v5
	ds_bpermute_b32 v10, v2, v11
	v_cmp_lt_i32_e32 vcc, v6, v12
	v_cndmask_b32_e32 v2, v4, v6, vcc
	v_lshlrev_b32_e32 v2, 2, v2
	v_cmp_lt_i32_e32 vcc, v7, v12
	s_waitcnt lgkmcnt(0)
	v_add_u32_e32 v6, v10, v11
	ds_bpermute_b32 v2, v2, v6
	v_cndmask_b32_e32 v7, v4, v7, vcc
	v_lshlrev_b32_e32 v7, 2, v7
	v_cmp_lt_i32_e32 vcc, v8, v12
	s_waitcnt lgkmcnt(0)
	v_add_u32_e32 v6, v2, v6
	ds_bpermute_b32 v11, v7, v6
	;; [unrolled: 6-line block ×3, first 2 shown]
	v_cndmask_b32_e32 v7, v4, v9, vcc
	v_cmp_lt_i32_e32 vcc, v0, v3
	s_waitcnt lgkmcnt(0)
	v_add_u32_e32 v4, v8, v6
	v_lshlrev_b32_e32 v6, 2, v7
	ds_bpermute_b32 v6, v6, v4
	s_and_saveexec_b64 s[2:3], vcc
	s_cbranch_execz .LBB4_13
; %bb.11:
	s_abs_i32 s7, s12
	v_cvt_f32_u32_e32 v7, s7
	s_sub_i32 s0, 0, s7
	v_add_u32_e32 v1, v1, v10
	v_add3_u32 v1, v1, v2, v11
	v_rcp_iflag_f32_e32 v7, v7
	s_waitcnt lgkmcnt(0)
	v_add3_u32 v1, v1, v8, v6
	s_mov_b64 s[8:9], 0
	v_add3_u32 v1, v1, v0, v5
	v_mul_f32_e32 v7, 0x4f7ffffe, v7
	v_cvt_u32_f32_e32 v9, v7
	v_lshl_add_u32 v7, v0, 2, 0
	v_mov_b32_e32 v8, v0
	v_mul_lo_u32 v12, s0, v9
	v_mul_hi_u32 v10, v9, v12
	v_add_u32_e32 v5, v9, v10
.LBB4_12:                               ; =>This Inner Loop Header: Depth=1
	ds_read_b32 v13, v7
	v_ashrrev_i32_e32 v2, 31, v1
	v_lshlrev_b64 v[9:10], 2, v[1:2]
	v_add_u32_e32 v8, 64, v8
	v_cmp_ge_i32_e32 vcc, v8, v3
	s_waitcnt lgkmcnt(0)
	v_lshrrev_b32_e32 v17, 22, v13
	v_mul_hi_u32 v2, v17, v5
	v_and_b32_e32 v16, 0x3fffff, v13
	v_mov_b32_e32 v12, s17
	s_or_b64 s[8:9], vcc, s[8:9]
	v_mul_lo_u32 v2, v2, s7
	v_add_co_u32_e32 v11, vcc, s16, v9
	v_addc_co_u32_e32 v12, vcc, v12, v10, vcc
	v_sub_u32_e32 v2, v17, v2
	v_subrev_u32_e32 v13, s7, v2
	v_cmp_le_u32_e64 s[0:1], s7, v2
	v_cndmask_b32_e64 v2, v2, v13, s[0:1]
	v_subrev_u32_e32 v13, s7, v2
	v_cmp_le_u32_e64 s[0:1], s7, v2
	v_cndmask_b32_e64 v2, v2, v13, s[0:1]
	v_mad_u64_u32 v[13:14], s[0:1], v16, s14, v[2:3]
	v_mov_b32_e32 v15, s19
	v_add_co_u32_e32 v9, vcc, s18, v9
	v_add_u32_e32 v7, 0x100, v7
	v_add_u32_e32 v1, 64, v1
	v_addc_co_u32_e32 v10, vcc, v15, v10, vcc
	v_lshl_add_u32 v2, v16, 4, v17
	global_store_dword v[9:10], v2, off
	global_store_dword v[11:12], v13, off
	s_andn2_b64 exec, exec, s[8:9]
	s_cbranch_execnz .LBB4_12
.LBB4_13:
	s_or_b64 exec, exec, s[2:3]
	v_cmp_eq_u32_e32 vcc, 0, v0
	s_and_saveexec_b64 s[0:1], vcc
	s_cbranch_execz .LBB4_16
; %bb.14:
	s_load_dword s0, s[4:5], 0x38
	s_ashr_i32 s7, s6, 31
	s_lshl_b64 s[2:3], s[6:7], 2
	s_add_u32 s2, s20, s2
	s_addc_u32 s3, s21, s3
	s_waitcnt lgkmcnt(0)
	s_add_i32 s1, s0, -1
	v_add_u32_e32 v0, v6, v4
	v_mov_b32_e32 v1, 0
	s_cmp_lt_i32 s6, s1
	global_store_dword v1, v0, s[2:3]
	s_cbranch_scc1 .LBB4_16
; %bb.15:
	s_mov_b32 s1, 0
	s_lshl_b64 s[0:1], s[0:1], 2
	s_add_u32 s0, s20, s0
	s_addc_u32 s1, s21, s1
	v_add_u32_e32 v0, v0, v3
	global_store_dword v1, v0, s[0:1]
.LBB4_16:
	s_endpgm
	.section	.rodata,"a",@progbits
	.p2align	6, 0x0
	.amdhsa_kernel _ZL13mm_ids_helperILi16EEvPKiPiS2_S2_iiiii
		.amdhsa_group_segment_fixed_size 0
		.amdhsa_private_segment_fixed_size 0
		.amdhsa_kernarg_size 312
		.amdhsa_user_sgpr_count 6
		.amdhsa_user_sgpr_private_segment_buffer 1
		.amdhsa_user_sgpr_dispatch_ptr 0
		.amdhsa_user_sgpr_queue_ptr 0
		.amdhsa_user_sgpr_kernarg_segment_ptr 1
		.amdhsa_user_sgpr_dispatch_id 0
		.amdhsa_user_sgpr_flat_scratch_init 0
		.amdhsa_user_sgpr_private_segment_size 0
		.amdhsa_uses_dynamic_stack 0
		.amdhsa_system_sgpr_private_segment_wavefront_offset 0
		.amdhsa_system_sgpr_workgroup_id_x 1
		.amdhsa_system_sgpr_workgroup_id_y 0
		.amdhsa_system_sgpr_workgroup_id_z 0
		.amdhsa_system_sgpr_workgroup_info 0
		.amdhsa_system_vgpr_workitem_id 0
		.amdhsa_next_free_vgpr 26
		.amdhsa_next_free_sgpr 25
		.amdhsa_reserve_vcc 1
		.amdhsa_reserve_flat_scratch 0
		.amdhsa_float_round_mode_32 0
		.amdhsa_float_round_mode_16_64 0
		.amdhsa_float_denorm_mode_32 3
		.amdhsa_float_denorm_mode_16_64 3
		.amdhsa_dx10_clamp 1
		.amdhsa_ieee_mode 1
		.amdhsa_fp16_overflow 0
		.amdhsa_exception_fp_ieee_invalid_op 0
		.amdhsa_exception_fp_denorm_src 0
		.amdhsa_exception_fp_ieee_div_zero 0
		.amdhsa_exception_fp_ieee_overflow 0
		.amdhsa_exception_fp_ieee_underflow 0
		.amdhsa_exception_fp_ieee_inexact 0
		.amdhsa_exception_int_div_zero 0
	.end_amdhsa_kernel
	.section	.text._ZL13mm_ids_helperILi16EEvPKiPiS2_S2_iiiii,"axG",@progbits,_ZL13mm_ids_helperILi16EEvPKiPiS2_S2_iiiii,comdat
.Lfunc_end4:
	.size	_ZL13mm_ids_helperILi16EEvPKiPiS2_S2_iiiii, .Lfunc_end4-_ZL13mm_ids_helperILi16EEvPKiPiS2_S2_iiiii
                                        ; -- End function
	.set _ZL13mm_ids_helperILi16EEvPKiPiS2_S2_iiiii.num_vgpr, 26
	.set _ZL13mm_ids_helperILi16EEvPKiPiS2_S2_iiiii.num_agpr, 0
	.set _ZL13mm_ids_helperILi16EEvPKiPiS2_S2_iiiii.numbered_sgpr, 25
	.set _ZL13mm_ids_helperILi16EEvPKiPiS2_S2_iiiii.num_named_barrier, 0
	.set _ZL13mm_ids_helperILi16EEvPKiPiS2_S2_iiiii.private_seg_size, 0
	.set _ZL13mm_ids_helperILi16EEvPKiPiS2_S2_iiiii.uses_vcc, 1
	.set _ZL13mm_ids_helperILi16EEvPKiPiS2_S2_iiiii.uses_flat_scratch, 0
	.set _ZL13mm_ids_helperILi16EEvPKiPiS2_S2_iiiii.has_dyn_sized_stack, 0
	.set _ZL13mm_ids_helperILi16EEvPKiPiS2_S2_iiiii.has_recursion, 0
	.set _ZL13mm_ids_helperILi16EEvPKiPiS2_S2_iiiii.has_indirect_call, 0
	.section	.AMDGPU.csdata,"",@progbits
; Kernel info:
; codeLenInByte = 1304
; TotalNumSgprs: 29
; NumVgprs: 26
; ScratchSize: 0
; MemoryBound: 0
; FloatMode: 240
; IeeeMode: 1
; LDSByteSize: 0 bytes/workgroup (compile time only)
; SGPRBlocks: 3
; VGPRBlocks: 6
; NumSGPRsForWavesPerEU: 29
; NumVGPRsForWavesPerEU: 26
; Occupancy: 9
; WaveLimiterHint : 0
; COMPUTE_PGM_RSRC2:SCRATCH_EN: 0
; COMPUTE_PGM_RSRC2:USER_SGPR: 6
; COMPUTE_PGM_RSRC2:TRAP_HANDLER: 0
; COMPUTE_PGM_RSRC2:TGID_X_EN: 1
; COMPUTE_PGM_RSRC2:TGID_Y_EN: 0
; COMPUTE_PGM_RSRC2:TGID_Z_EN: 0
; COMPUTE_PGM_RSRC2:TIDIG_COMP_CNT: 0
	.section	.text._ZL13mm_ids_helperILi32EEvPKiPiS2_S2_iiiii,"axG",@progbits,_ZL13mm_ids_helperILi32EEvPKiPiS2_S2_iiiii,comdat
	.globl	_ZL13mm_ids_helperILi32EEvPKiPiS2_S2_iiiii ; -- Begin function _ZL13mm_ids_helperILi32EEvPKiPiS2_S2_iiiii
	.p2align	8
	.type	_ZL13mm_ids_helperILi32EEvPKiPiS2_S2_iiiii,@function
_ZL13mm_ids_helperILi32EEvPKiPiS2_S2_iiiii: ; @_ZL13mm_ids_helperILi32EEvPKiPiS2_S2_iiiii
; %bb.0:
	s_load_dword s7, s[4:5], 0x20
	s_load_dwordx4 s[8:11], s[4:5], 0x28
	v_mbcnt_lo_u32_b32 v1, -1, 0
	s_waitcnt lgkmcnt(0)
	s_cmp_gt_i32 s7, 0
	s_cbranch_scc1 .LBB5_2
; %bb.1:
	v_mbcnt_hi_u32_b32 v4, -1, v1
	v_and_b32_e32 v11, 64, v4
	v_xor_b32_e32 v6, 16, v4
	v_xor_b32_e32 v7, 8, v4
	;; [unrolled: 1-line block ×5, first 2 shown]
	s_mov_b64 s[0:1], 0
	s_branch .LBB5_3
.LBB5_2:
	s_mov_b64 s[0:1], -1
                                        ; implicit-def: $vgpr4
                                        ; implicit-def: $vgpr11
                                        ; implicit-def: $vgpr6
                                        ; implicit-def: $vgpr7
                                        ; implicit-def: $vgpr8
                                        ; implicit-def: $vgpr9
                                        ; implicit-def: $vgpr10
.LBB5_3:
	s_load_dwordx4 s[12:15], s[4:5], 0x8
	s_load_dwordx2 s[16:17], s[4:5], 0x18
	v_mov_b32_e32 v5, 0
	s_andn2_b64 vcc, exec, s[0:1]
	v_mov_b32_e32 v3, 0
	s_cbranch_vccnz .LBB5_10
; %bb.4:
	v_mbcnt_hi_u32_b32 v4, -1, v1
	v_and_b32_e32 v1, 0x60, v4
	v_add_u32_e32 v1, 32, v1
	v_xor_b32_e32 v6, 16, v4
	v_cmp_lt_i32_e32 vcc, v6, v1
	v_xor_b32_e32 v7, 8, v4
	v_cndmask_b32_e32 v3, v4, v6, vcc
	v_cmp_lt_i32_e32 vcc, v7, v1
	v_xor_b32_e32 v8, 4, v4
	v_lshlrev_b32_e32 v13, 2, v3
	v_cndmask_b32_e32 v3, v4, v7, vcc
	v_cmp_lt_i32_e32 vcc, v8, v1
	v_xor_b32_e32 v9, 2, v4
	v_lshlrev_b32_e32 v14, 2, v3
	;; [unrolled: 4-line block ×3, first 2 shown]
	v_cndmask_b32_e32 v3, v4, v9, vcc
	v_cmp_lt_i32_e32 vcc, v10, v1
	v_cndmask_b32_e32 v1, v4, v10, vcc
	v_lshlrev_b32_e32 v17, 2, v1
	v_bfrev_b32_e32 v1, 0.5
	v_and_b32_e32 v11, 64, v4
	v_lshl_or_b32 v19, v4, 2, v1
	v_subrev_u32_e32 v1, 32, v4
	v_cmp_lt_i32_e64 s[0:1], v1, v11
	s_load_dwordx2 s[18:19], s[4:5], 0x0
	v_lshrrev_b32_e32 v12, 5, v0
	v_and_b32_e32 v2, 31, v0
	v_cndmask_b32_e64 v1, v1, v4, s[0:1]
	v_lshlrev_b32_e32 v18, 22, v2
	v_lshlrev_b32_e32 v20, 2, v1
	v_mad_u64_u32 v[1:2], s[0:1], s9, v12, v[2:3]
	v_mov_b32_e32 v5, 0
	v_lshlrev_b32_e32 v16, 2, v3
	v_cmp_gt_u32_e32 vcc, 32, v0
	s_lshl_b32 s9, s9, 1
	s_mov_b32 s11, 0
	s_mov_b32 s20, 0x3fffff
	v_mov_b32_e32 v3, 0
	s_branch .LBB5_6
.LBB5_5:                                ;   in Loop: Header=BB5_6 Depth=1
	s_or_b64 exec, exec, s[2:3]
	v_add_u32_e32 v21, v23, v22
	ds_bpermute_b32 v21, v19, v21
	v_cmp_gt_i32_e64 s[0:1], s6, v2
	s_add_i32 s11, s11, 2
	v_addc_co_u32_e64 v5, s[0:1], 0, v5, s[0:1]
	s_waitcnt lgkmcnt(0)
	v_add_u32_e32 v3, v21, v3
	s_cmp_ge_i32 s11, s7
	v_add_u32_e32 v1, s9, v1
	s_cbranch_scc1 .LBB5_10
.LBB5_6:                                ; =>This Inner Loop Header: Depth=1
	v_add_u32_e32 v21, s11, v12
	v_cmp_gt_i32_e64 s[0:1], s7, v21
	v_bfrev_b32_e32 v2, -2
	s_and_saveexec_b64 s[2:3], s[0:1]
	s_cbranch_execz .LBB5_8
; %bb.7:                                ;   in Loop: Header=BB5_6 Depth=1
	v_ashrrev_i32_e32 v2, 31, v1
	v_lshlrev_b64 v[22:23], 2, v[1:2]
	s_waitcnt lgkmcnt(0)
	v_mov_b32_e32 v2, s19
	v_add_co_u32_e64 v22, s[0:1], s18, v22
	v_addc_co_u32_e64 v23, s[0:1], v2, v23, s[0:1]
	global_load_dword v2, v[22:23], off
.LBB5_8:                                ;   in Loop: Header=BB5_6 Depth=1
	s_or_b64 exec, exec, s[2:3]
	s_waitcnt vmcnt(0)
	v_cmp_eq_u32_e64 s[0:1], s6, v2
	v_cndmask_b32_e64 v22, 0, 1, s[0:1]
	ds_bpermute_b32 v23, v13, v22
	s_waitcnt lgkmcnt(0)
	v_or_b32_e32 v22, v23, v22
	v_cmp_ne_u32_e64 s[2:3], 0, v22
	v_cndmask_b32_e64 v23, 0, 1, s[2:3]
	ds_bpermute_b32 v23, v14, v23
	s_waitcnt lgkmcnt(0)
	v_or_b32_e32 v22, v23, v22
	v_cmp_ne_u32_e64 s[2:3], 0, v22
	;; [unrolled: 5-line block ×5, first 2 shown]
	v_cndmask_b32_e64 v22, 0, 1, s[2:3]
	ds_bpermute_b32 v23, v20, v22
	s_waitcnt lgkmcnt(0)
	v_cndmask_b32_e64 v23, v23, 0, vcc
	s_and_saveexec_b64 s[2:3], s[0:1]
	s_cbranch_execz .LBB5_5
; %bb.9:                                ;   in Loop: Header=BB5_6 Depth=1
	v_lshlrev_b32_e32 v24, 2, v3
	v_lshlrev_b32_e32 v25, 2, v23
	v_add3_u32 v24, 0, v24, v25
	v_and_or_b32 v21, v21, s20, v18
	ds_write_b32 v24, v21
	s_branch .LBB5_5
.LBB5_10:
	v_add_u32_e32 v12, 64, v11
	v_xor_b32_e32 v1, 32, v4
	v_cmp_lt_i32_e32 vcc, v1, v12
	v_cndmask_b32_e32 v1, v4, v1, vcc
	v_lshlrev_b32_e32 v1, 2, v1
	ds_bpermute_b32 v1, v1, v5
	v_cmp_lt_i32_e32 vcc, v6, v12
	v_cndmask_b32_e32 v2, v4, v6, vcc
	v_lshlrev_b32_e32 v2, 2, v2
	v_cmp_lt_i32_e32 vcc, v7, v12
	s_waitcnt lgkmcnt(0)
	v_add_u32_e32 v6, v1, v5
	ds_bpermute_b32 v11, v2, v6
	v_cndmask_b32_e32 v2, v4, v7, vcc
	v_lshlrev_b32_e32 v2, 2, v2
	v_cmp_lt_i32_e32 vcc, v8, v12
	v_cndmask_b32_e32 v7, v4, v8, vcc
	s_waitcnt lgkmcnt(0)
	v_add_u32_e32 v6, v11, v6
	ds_bpermute_b32 v2, v2, v6
	v_lshlrev_b32_e32 v7, 2, v7
	v_cmp_lt_i32_e32 vcc, v9, v12
	s_waitcnt lgkmcnt(0)
	v_add_u32_e32 v6, v2, v6
	ds_bpermute_b32 v8, v7, v6
	v_cndmask_b32_e32 v7, v4, v9, vcc
	v_lshlrev_b32_e32 v7, 2, v7
	v_cmp_lt_i32_e32 vcc, v10, v12
	s_waitcnt lgkmcnt(0)
	v_add_u32_e32 v6, v8, v6
	ds_bpermute_b32 v9, v7, v6
	v_cndmask_b32_e32 v7, v4, v10, vcc
	v_cmp_lt_i32_e32 vcc, v0, v3
	s_waitcnt lgkmcnt(0)
	v_add_u32_e32 v4, v9, v6
	v_lshlrev_b32_e32 v6, 2, v7
	ds_bpermute_b32 v6, v6, v4
	s_and_saveexec_b64 s[2:3], vcc
	s_cbranch_execz .LBB5_13
; %bb.11:
	s_abs_i32 s7, s8
	v_cvt_f32_u32_e32 v7, s7
	s_sub_i32 s0, 0, s7
	v_add_u32_e32 v1, v1, v11
	v_add3_u32 v1, v1, v2, v8
	v_rcp_iflag_f32_e32 v7, v7
	s_waitcnt lgkmcnt(0)
	v_add3_u32 v1, v1, v9, v6
	s_mov_b64 s[8:9], 0
	v_add3_u32 v1, v1, v0, v5
	v_mul_f32_e32 v7, 0x4f7ffffe, v7
	v_cvt_u32_f32_e32 v10, v7
	v_lshl_add_u32 v7, v0, 2, 0
	v_mov_b32_e32 v8, v0
	v_mul_lo_u32 v12, s0, v10
	v_mul_hi_u32 v11, v10, v12
	v_add_u32_e32 v5, v10, v11
.LBB5_12:                               ; =>This Inner Loop Header: Depth=1
	ds_read_b32 v13, v7
	v_ashrrev_i32_e32 v2, 31, v1
	v_lshlrev_b64 v[9:10], 2, v[1:2]
	v_add_u32_e32 v8, 64, v8
	v_cmp_ge_i32_e32 vcc, v8, v3
	s_waitcnt lgkmcnt(0)
	v_lshrrev_b32_e32 v17, 22, v13
	v_mul_hi_u32 v2, v17, v5
	v_and_b32_e32 v16, 0x3fffff, v13
	v_mov_b32_e32 v12, s13
	s_or_b64 s[8:9], vcc, s[8:9]
	v_mul_lo_u32 v2, v2, s7
	v_add_co_u32_e32 v11, vcc, s12, v9
	v_addc_co_u32_e32 v12, vcc, v12, v10, vcc
	v_sub_u32_e32 v2, v17, v2
	v_subrev_u32_e32 v13, s7, v2
	v_cmp_le_u32_e64 s[0:1], s7, v2
	v_cndmask_b32_e64 v2, v2, v13, s[0:1]
	v_subrev_u32_e32 v13, s7, v2
	v_cmp_le_u32_e64 s[0:1], s7, v2
	v_cndmask_b32_e64 v2, v2, v13, s[0:1]
	v_mad_u64_u32 v[13:14], s[0:1], v16, s10, v[2:3]
	v_mov_b32_e32 v15, s15
	v_add_co_u32_e32 v9, vcc, s14, v9
	v_add_u32_e32 v7, 0x100, v7
	v_add_u32_e32 v1, 64, v1
	v_addc_co_u32_e32 v10, vcc, v15, v10, vcc
	v_lshl_add_u32 v2, v16, 5, v17
	global_store_dword v[9:10], v2, off
	global_store_dword v[11:12], v13, off
	s_andn2_b64 exec, exec, s[8:9]
	s_cbranch_execnz .LBB5_12
.LBB5_13:
	s_or_b64 exec, exec, s[2:3]
	v_cmp_eq_u32_e32 vcc, 0, v0
	s_and_saveexec_b64 s[0:1], vcc
	s_cbranch_execz .LBB5_16
; %bb.14:
	s_load_dword s0, s[4:5], 0x38
	s_ashr_i32 s7, s6, 31
	s_lshl_b64 s[2:3], s[6:7], 2
	s_add_u32 s2, s16, s2
	s_addc_u32 s3, s17, s3
	s_waitcnt lgkmcnt(0)
	s_add_i32 s1, s0, -1
	v_add_u32_e32 v0, v6, v4
	v_mov_b32_e32 v1, 0
	s_cmp_lt_i32 s6, s1
	global_store_dword v1, v0, s[2:3]
	s_cbranch_scc1 .LBB5_16
; %bb.15:
	s_mov_b32 s1, 0
	s_lshl_b64 s[0:1], s[0:1], 2
	s_add_u32 s0, s16, s0
	s_addc_u32 s1, s17, s1
	v_add_u32_e32 v0, v0, v3
	global_store_dword v1, v0, s[0:1]
.LBB5_16:
	s_endpgm
	.section	.rodata,"a",@progbits
	.p2align	6, 0x0
	.amdhsa_kernel _ZL13mm_ids_helperILi32EEvPKiPiS2_S2_iiiii
		.amdhsa_group_segment_fixed_size 0
		.amdhsa_private_segment_fixed_size 0
		.amdhsa_kernarg_size 312
		.amdhsa_user_sgpr_count 6
		.amdhsa_user_sgpr_private_segment_buffer 1
		.amdhsa_user_sgpr_dispatch_ptr 0
		.amdhsa_user_sgpr_queue_ptr 0
		.amdhsa_user_sgpr_kernarg_segment_ptr 1
		.amdhsa_user_sgpr_dispatch_id 0
		.amdhsa_user_sgpr_flat_scratch_init 0
		.amdhsa_user_sgpr_private_segment_size 0
		.amdhsa_uses_dynamic_stack 0
		.amdhsa_system_sgpr_private_segment_wavefront_offset 0
		.amdhsa_system_sgpr_workgroup_id_x 1
		.amdhsa_system_sgpr_workgroup_id_y 0
		.amdhsa_system_sgpr_workgroup_id_z 0
		.amdhsa_system_sgpr_workgroup_info 0
		.amdhsa_system_vgpr_workitem_id 0
		.amdhsa_next_free_vgpr 26
		.amdhsa_next_free_sgpr 21
		.amdhsa_reserve_vcc 1
		.amdhsa_reserve_flat_scratch 0
		.amdhsa_float_round_mode_32 0
		.amdhsa_float_round_mode_16_64 0
		.amdhsa_float_denorm_mode_32 3
		.amdhsa_float_denorm_mode_16_64 3
		.amdhsa_dx10_clamp 1
		.amdhsa_ieee_mode 1
		.amdhsa_fp16_overflow 0
		.amdhsa_exception_fp_ieee_invalid_op 0
		.amdhsa_exception_fp_denorm_src 0
		.amdhsa_exception_fp_ieee_div_zero 0
		.amdhsa_exception_fp_ieee_overflow 0
		.amdhsa_exception_fp_ieee_underflow 0
		.amdhsa_exception_fp_ieee_inexact 0
		.amdhsa_exception_int_div_zero 0
	.end_amdhsa_kernel
	.section	.text._ZL13mm_ids_helperILi32EEvPKiPiS2_S2_iiiii,"axG",@progbits,_ZL13mm_ids_helperILi32EEvPKiPiS2_S2_iiiii,comdat
.Lfunc_end5:
	.size	_ZL13mm_ids_helperILi32EEvPKiPiS2_S2_iiiii, .Lfunc_end5-_ZL13mm_ids_helperILi32EEvPKiPiS2_S2_iiiii
                                        ; -- End function
	.set _ZL13mm_ids_helperILi32EEvPKiPiS2_S2_iiiii.num_vgpr, 26
	.set _ZL13mm_ids_helperILi32EEvPKiPiS2_S2_iiiii.num_agpr, 0
	.set _ZL13mm_ids_helperILi32EEvPKiPiS2_S2_iiiii.numbered_sgpr, 21
	.set _ZL13mm_ids_helperILi32EEvPKiPiS2_S2_iiiii.num_named_barrier, 0
	.set _ZL13mm_ids_helperILi32EEvPKiPiS2_S2_iiiii.private_seg_size, 0
	.set _ZL13mm_ids_helperILi32EEvPKiPiS2_S2_iiiii.uses_vcc, 1
	.set _ZL13mm_ids_helperILi32EEvPKiPiS2_S2_iiiii.uses_flat_scratch, 0
	.set _ZL13mm_ids_helperILi32EEvPKiPiS2_S2_iiiii.has_dyn_sized_stack, 0
	.set _ZL13mm_ids_helperILi32EEvPKiPiS2_S2_iiiii.has_recursion, 0
	.set _ZL13mm_ids_helperILi32EEvPKiPiS2_S2_iiiii.has_indirect_call, 0
	.section	.AMDGPU.csdata,"",@progbits
; Kernel info:
; codeLenInByte = 1248
; TotalNumSgprs: 25
; NumVgprs: 26
; ScratchSize: 0
; MemoryBound: 0
; FloatMode: 240
; IeeeMode: 1
; LDSByteSize: 0 bytes/workgroup (compile time only)
; SGPRBlocks: 3
; VGPRBlocks: 6
; NumSGPRsForWavesPerEU: 25
; NumVGPRsForWavesPerEU: 26
; Occupancy: 9
; WaveLimiterHint : 0
; COMPUTE_PGM_RSRC2:SCRATCH_EN: 0
; COMPUTE_PGM_RSRC2:USER_SGPR: 6
; COMPUTE_PGM_RSRC2:TRAP_HANDLER: 0
; COMPUTE_PGM_RSRC2:TGID_X_EN: 1
; COMPUTE_PGM_RSRC2:TGID_Y_EN: 0
; COMPUTE_PGM_RSRC2:TGID_Z_EN: 0
; COMPUTE_PGM_RSRC2:TIDIG_COMP_CNT: 0
	.section	.text._ZL13mm_ids_helperILi0EEvPKiPiS2_S2_iiiii,"axG",@progbits,_ZL13mm_ids_helperILi0EEvPKiPiS2_S2_iiiii,comdat
	.globl	_ZL13mm_ids_helperILi0EEvPKiPiS2_S2_iiiii ; -- Begin function _ZL13mm_ids_helperILi0EEvPKiPiS2_S2_iiiii
	.p2align	8
	.type	_ZL13mm_ids_helperILi0EEvPKiPiS2_S2_iiiii,@function
_ZL13mm_ids_helperILi0EEvPKiPiS2_S2_iiiii: ; @_ZL13mm_ids_helperILi0EEvPKiPiS2_S2_iiiii
; %bb.0:
	s_load_dwordx4 s[8:11], s[4:5], 0x20
	s_load_dwordx4 s[12:15], s[4:5], 0x8
	s_load_dwordx2 s[16:17], s[4:5], 0x18
	s_load_dword s7, s[4:5], 0x30
	s_waitcnt lgkmcnt(0)
	s_cmp_lt_i32 s8, 1
	s_cbranch_scc1 .LBB6_9
; %bb.1:
	s_load_dwordx2 s[18:19], s[4:5], 0x0
	v_cmp_gt_i32_e64 s[0:1], s9, v0
	v_mov_b32_e32 v4, 0
	s_mov_b32 s24, 0
	s_mov_b32 s25, 0
	v_mov_b32_e32 v1, v0
	s_branch .LBB6_3
.LBB6_2:                                ;   in Loop: Header=BB6_3 Depth=1
	s_or_b64 exec, exec, s[2:3]
	v_cndmask_b32_e64 v2, 0, 1, vcc
	v_cmp_ne_u32_e32 vcc, 0, v2
	s_cmp_lg_u64 vcc, 0
	s_cselect_b64 s[2:3], -1, 0
	s_cmp_lg_u64 s[2:3], 0
	s_addc_u32 s24, s24, 0
	s_add_i32 s25, s25, 1
	s_cmp_eq_u32 s25, s8
	v_add_u32_e32 v1, s11, v1
	s_cbranch_scc1 .LBB6_10
.LBB6_3:                                ; =>This Loop Header: Depth=1
                                        ;     Child Loop BB6_5 Depth 2
	v_mov_b32_e32 v5, -1
	s_and_saveexec_b64 s[20:21], s[0:1]
	s_cbranch_execz .LBB6_7
; %bb.4:                                ;   in Loop: Header=BB6_3 Depth=1
	v_ashrrev_i32_e32 v2, 31, v1
	v_lshlrev_b64 v[2:3], 2, v[1:2]
	s_waitcnt lgkmcnt(0)
	v_mov_b32_e32 v5, s19
	v_add_co_u32_e32 v2, vcc, s18, v2
	v_addc_co_u32_e32 v3, vcc, v5, v3, vcc
	v_mov_b32_e32 v5, -1
	s_mov_b64 s[22:23], 0
	v_mov_b32_e32 v6, v0
.LBB6_5:                                ;   Parent Loop BB6_3 Depth=1
                                        ; =>  This Inner Loop Header: Depth=2
	global_load_dword v7, v[2:3], off
	v_add_co_u32_e32 v2, vcc, 0x100, v2
	v_addc_co_u32_e32 v3, vcc, 0, v3, vcc
	s_waitcnt vmcnt(0)
	v_cmp_eq_u32_e64 s[2:3], s6, v7
	v_cndmask_b32_e64 v5, v5, v6, s[2:3]
	v_add_u32_e32 v6, 64, v6
	v_cmp_gt_i32_e32 vcc, s6, v7
	v_cmp_le_i32_e64 s[2:3], s9, v6
	s_or_b64 s[22:23], s[2:3], s[22:23]
	v_addc_co_u32_e32 v4, vcc, 0, v4, vcc
	s_andn2_b64 exec, exec, s[22:23]
	s_cbranch_execnz .LBB6_5
; %bb.6:                                ;   in Loop: Header=BB6_3 Depth=1
	s_or_b64 exec, exec, s[22:23]
.LBB6_7:                                ;   in Loop: Header=BB6_3 Depth=1
	s_or_b64 exec, exec, s[20:21]
	v_cmp_ne_u32_e32 vcc, -1, v5
	s_and_saveexec_b64 s[2:3], vcc
	s_cbranch_execz .LBB6_2
; %bb.8:                                ;   in Loop: Header=BB6_3 Depth=1
	s_lshl_b32 s20, s24, 2
	s_add_i32 s20, s20, 0
	s_and_b32 s21, s25, 0x3fffff
	v_lshl_or_b32 v2, v5, 22, s21
	v_mov_b32_e32 v3, s20
	ds_write_b32 v3, v2
	s_branch .LBB6_2
.LBB6_9:
	v_mov_b32_e32 v4, 0
	s_mov_b32 s24, 0
.LBB6_10:
	v_mbcnt_lo_u32_b32 v1, -1, 0
	v_mbcnt_hi_u32_b32 v5, -1, v1
	v_and_b32_e32 v1, 64, v5
	v_add_u32_e32 v6, 64, v1
	v_xor_b32_e32 v1, 32, v5
	v_cmp_lt_i32_e32 vcc, v1, v6
	v_cndmask_b32_e32 v1, v5, v1, vcc
	v_lshlrev_b32_e32 v1, 2, v1
	ds_bpermute_b32 v1, v1, v4
	v_xor_b32_e32 v2, 16, v5
	v_cmp_lt_i32_e32 vcc, v2, v6
	v_cndmask_b32_e32 v2, v5, v2, vcc
	v_lshlrev_b32_e32 v2, 2, v2
	s_waitcnt lgkmcnt(0)
	v_add_u32_e32 v3, v1, v4
	ds_bpermute_b32 v2, v2, v3
	v_xor_b32_e32 v7, 8, v5
	v_cmp_lt_i32_e32 vcc, v7, v6
	v_cndmask_b32_e32 v7, v5, v7, vcc
	v_lshlrev_b32_e32 v7, 2, v7
	s_waitcnt lgkmcnt(0)
	v_add_u32_e32 v3, v2, v3
	;; [unrolled: 7-line block ×5, first 2 shown]
	ds_bpermute_b32 v5, v5, v3
	v_cmp_gt_u32_e32 vcc, s24, v0
	s_and_saveexec_b64 s[2:3], vcc
	s_cbranch_execz .LBB6_13
; %bb.11:
	s_abs_i32 s8, s10
	v_cvt_f32_u32_e32 v6, s8
	s_sub_i32 s0, 0, s8
	v_add_u32_e32 v1, v1, v2
	v_add3_u32 v1, v1, v7, v8
	v_rcp_iflag_f32_e32 v6, v6
	s_waitcnt lgkmcnt(0)
	v_add3_u32 v1, v1, v9, v5
	s_mov_b64 s[10:11], 0
	v_add3_u32 v1, v1, v0, v4
	v_mul_f32_e32 v6, 0x4f7ffffe, v6
	v_cvt_u32_f32_e32 v10, v6
	v_lshl_add_u32 v6, v0, 2, 0
	v_mov_b32_e32 v7, v0
	v_mul_lo_u32 v11, s0, v10
	v_mul_hi_u32 v2, v10, v11
	v_add_u32_e32 v4, v10, v2
.LBB6_12:                               ; =>This Inner Loop Header: Depth=1
	ds_read_b32 v12, v6
	v_ashrrev_i32_e32 v2, 31, v1
	v_lshlrev_b64 v[8:9], 2, v[1:2]
	v_add_u32_e32 v7, 64, v7
	v_cmp_le_u32_e32 vcc, s24, v7
	s_waitcnt lgkmcnt(0)
	v_lshrrev_b32_e32 v2, 22, v12
	v_mul_hi_u32 v16, v2, v4
	v_and_b32_e32 v14, 0x3fffff, v12
	v_mad_u64_u32 v[12:13], s[0:1], v14, s9, v[2:3]
	v_mul_lo_u32 v13, v16, s8
	v_mov_b32_e32 v11, s13
	s_or_b64 s[10:11], vcc, s[10:11]
	v_add_co_u32_e32 v10, vcc, s12, v8
	v_sub_u32_e32 v2, v2, v13
	v_subrev_u32_e32 v13, s8, v2
	v_cmp_le_u32_e64 s[0:1], s8, v2
	v_cndmask_b32_e64 v2, v2, v13, s[0:1]
	v_subrev_u32_e32 v13, s8, v2
	v_cmp_le_u32_e64 s[0:1], s8, v2
	v_cndmask_b32_e64 v2, v2, v13, s[0:1]
	v_addc_co_u32_e32 v11, vcc, v11, v9, vcc
	v_mad_u64_u32 v[13:14], s[0:1], v14, s7, v[2:3]
	v_mov_b32_e32 v15, s15
	v_add_co_u32_e32 v8, vcc, s14, v8
	v_add_u32_e32 v6, 0x100, v6
	v_add_u32_e32 v1, 64, v1
	v_addc_co_u32_e32 v9, vcc, v15, v9, vcc
	global_store_dword v[8:9], v12, off
	global_store_dword v[10:11], v13, off
	s_andn2_b64 exec, exec, s[10:11]
	s_cbranch_execnz .LBB6_12
.LBB6_13:
	s_or_b64 exec, exec, s[2:3]
	v_cmp_eq_u32_e32 vcc, 0, v0
	s_and_saveexec_b64 s[0:1], vcc
	s_cbranch_execz .LBB6_16
; %bb.14:
	s_load_dword s0, s[4:5], 0x38
	s_ashr_i32 s7, s6, 31
	s_lshl_b64 s[2:3], s[6:7], 2
	s_add_u32 s2, s16, s2
	s_addc_u32 s3, s17, s3
	s_waitcnt lgkmcnt(0)
	s_add_i32 s1, s0, -1
	v_add_u32_e32 v0, v5, v3
	v_mov_b32_e32 v1, 0
	s_cmp_lt_i32 s6, s1
	global_store_dword v1, v0, s[2:3]
	s_cbranch_scc1 .LBB6_16
; %bb.15:
	s_mov_b32 s1, 0
	s_lshl_b64 s[0:1], s[0:1], 2
	s_add_u32 s0, s16, s0
	s_addc_u32 s1, s17, s1
	v_add_u32_e32 v0, s24, v0
	global_store_dword v1, v0, s[0:1]
.LBB6_16:
	s_endpgm
	.section	.rodata,"a",@progbits
	.p2align	6, 0x0
	.amdhsa_kernel _ZL13mm_ids_helperILi0EEvPKiPiS2_S2_iiiii
		.amdhsa_group_segment_fixed_size 0
		.amdhsa_private_segment_fixed_size 0
		.amdhsa_kernarg_size 312
		.amdhsa_user_sgpr_count 6
		.amdhsa_user_sgpr_private_segment_buffer 1
		.amdhsa_user_sgpr_dispatch_ptr 0
		.amdhsa_user_sgpr_queue_ptr 0
		.amdhsa_user_sgpr_kernarg_segment_ptr 1
		.amdhsa_user_sgpr_dispatch_id 0
		.amdhsa_user_sgpr_flat_scratch_init 0
		.amdhsa_user_sgpr_private_segment_size 0
		.amdhsa_uses_dynamic_stack 0
		.amdhsa_system_sgpr_private_segment_wavefront_offset 0
		.amdhsa_system_sgpr_workgroup_id_x 1
		.amdhsa_system_sgpr_workgroup_id_y 0
		.amdhsa_system_sgpr_workgroup_id_z 0
		.amdhsa_system_sgpr_workgroup_info 0
		.amdhsa_system_vgpr_workitem_id 0
		.amdhsa_next_free_vgpr 17
		.amdhsa_next_free_sgpr 26
		.amdhsa_reserve_vcc 1
		.amdhsa_reserve_flat_scratch 0
		.amdhsa_float_round_mode_32 0
		.amdhsa_float_round_mode_16_64 0
		.amdhsa_float_denorm_mode_32 3
		.amdhsa_float_denorm_mode_16_64 3
		.amdhsa_dx10_clamp 1
		.amdhsa_ieee_mode 1
		.amdhsa_fp16_overflow 0
		.amdhsa_exception_fp_ieee_invalid_op 0
		.amdhsa_exception_fp_denorm_src 0
		.amdhsa_exception_fp_ieee_div_zero 0
		.amdhsa_exception_fp_ieee_overflow 0
		.amdhsa_exception_fp_ieee_underflow 0
		.amdhsa_exception_fp_ieee_inexact 0
		.amdhsa_exception_int_div_zero 0
	.end_amdhsa_kernel
	.section	.text._ZL13mm_ids_helperILi0EEvPKiPiS2_S2_iiiii,"axG",@progbits,_ZL13mm_ids_helperILi0EEvPKiPiS2_S2_iiiii,comdat
.Lfunc_end6:
	.size	_ZL13mm_ids_helperILi0EEvPKiPiS2_S2_iiiii, .Lfunc_end6-_ZL13mm_ids_helperILi0EEvPKiPiS2_S2_iiiii
                                        ; -- End function
	.set _ZL13mm_ids_helperILi0EEvPKiPiS2_S2_iiiii.num_vgpr, 17
	.set _ZL13mm_ids_helperILi0EEvPKiPiS2_S2_iiiii.num_agpr, 0
	.set _ZL13mm_ids_helperILi0EEvPKiPiS2_S2_iiiii.numbered_sgpr, 26
	.set _ZL13mm_ids_helperILi0EEvPKiPiS2_S2_iiiii.num_named_barrier, 0
	.set _ZL13mm_ids_helperILi0EEvPKiPiS2_S2_iiiii.private_seg_size, 0
	.set _ZL13mm_ids_helperILi0EEvPKiPiS2_S2_iiiii.uses_vcc, 1
	.set _ZL13mm_ids_helperILi0EEvPKiPiS2_S2_iiiii.uses_flat_scratch, 0
	.set _ZL13mm_ids_helperILi0EEvPKiPiS2_S2_iiiii.has_dyn_sized_stack, 0
	.set _ZL13mm_ids_helperILi0EEvPKiPiS2_S2_iiiii.has_recursion, 0
	.set _ZL13mm_ids_helperILi0EEvPKiPiS2_S2_iiiii.has_indirect_call, 0
	.section	.AMDGPU.csdata,"",@progbits
; Kernel info:
; codeLenInByte = 924
; TotalNumSgprs: 30
; NumVgprs: 17
; ScratchSize: 0
; MemoryBound: 0
; FloatMode: 240
; IeeeMode: 1
; LDSByteSize: 0 bytes/workgroup (compile time only)
; SGPRBlocks: 3
; VGPRBlocks: 4
; NumSGPRsForWavesPerEU: 30
; NumVGPRsForWavesPerEU: 17
; Occupancy: 10
; WaveLimiterHint : 0
; COMPUTE_PGM_RSRC2:SCRATCH_EN: 0
; COMPUTE_PGM_RSRC2:USER_SGPR: 6
; COMPUTE_PGM_RSRC2:TRAP_HANDLER: 0
; COMPUTE_PGM_RSRC2:TGID_X_EN: 1
; COMPUTE_PGM_RSRC2:TGID_Y_EN: 0
; COMPUTE_PGM_RSRC2:TGID_Z_EN: 0
; COMPUTE_PGM_RSRC2:TIDIG_COMP_CNT: 0
	.section	.AMDGPU.gpr_maximums,"",@progbits
	.set amdgpu.max_num_vgpr, 0
	.set amdgpu.max_num_agpr, 0
	.set amdgpu.max_num_sgpr, 0
	.section	.AMDGPU.csdata,"",@progbits
	.type	__hip_cuid_bb08459bb8f15841,@object ; @__hip_cuid_bb08459bb8f15841
	.section	.bss,"aw",@nobits
	.globl	__hip_cuid_bb08459bb8f15841
__hip_cuid_bb08459bb8f15841:
	.byte	0                               ; 0x0
	.size	__hip_cuid_bb08459bb8f15841, 1

	.ident	"AMD clang version 22.0.0git (https://github.com/RadeonOpenCompute/llvm-project roc-7.2.4 26084 f58b06dce1f9c15707c5f808fd002e18c2accf7e)"
	.section	".note.GNU-stack","",@progbits
	.addrsig
	.addrsig_sym __hip_cuid_bb08459bb8f15841
	.amdgpu_metadata
---
amdhsa.kernels:
  - .args:
      - .actual_access:  read_only
        .address_space:  global
        .offset:         0
        .size:           8
        .value_kind:     global_buffer
      - .actual_access:  write_only
        .address_space:  global
        .offset:         8
        .size:           8
        .value_kind:     global_buffer
      - .actual_access:  write_only
        .address_space:  global
        .offset:         16
        .size:           8
        .value_kind:     global_buffer
      - .actual_access:  write_only
        .address_space:  global
        .offset:         24
        .size:           8
        .value_kind:     global_buffer
      - .offset:         32
        .size:           4
        .value_kind:     by_value
      - .offset:         36
        .size:           4
        .value_kind:     by_value
      - .offset:         40
        .size:           4
        .value_kind:     by_value
      - .offset:         44
        .size:           4
        .value_kind:     by_value
      - .offset:         48
        .size:           4
        .value_kind:     by_value
      - .offset:         56
        .size:           4
        .value_kind:     hidden_block_count_x
      - .offset:         60
        .size:           4
        .value_kind:     hidden_block_count_y
      - .offset:         64
        .size:           4
        .value_kind:     hidden_block_count_z
      - .offset:         68
        .size:           2
        .value_kind:     hidden_group_size_x
      - .offset:         70
        .size:           2
        .value_kind:     hidden_group_size_y
      - .offset:         72
        .size:           2
        .value_kind:     hidden_group_size_z
      - .offset:         74
        .size:           2
        .value_kind:     hidden_remainder_x
      - .offset:         76
        .size:           2
        .value_kind:     hidden_remainder_y
      - .offset:         78
        .size:           2
        .value_kind:     hidden_remainder_z
      - .offset:         96
        .size:           8
        .value_kind:     hidden_global_offset_x
      - .offset:         104
        .size:           8
        .value_kind:     hidden_global_offset_y
      - .offset:         112
        .size:           8
        .value_kind:     hidden_global_offset_z
      - .offset:         120
        .size:           2
        .value_kind:     hidden_grid_dims
      - .offset:         176
        .size:           4
        .value_kind:     hidden_dynamic_lds_size
    .group_segment_fixed_size: 0
    .kernarg_segment_align: 8
    .kernarg_segment_size: 312
    .language:       OpenCL C
    .language_version:
      - 2
      - 0
    .max_flat_workgroup_size: 64
    .name:           _ZL13mm_ids_helperILi2EEvPKiPiS2_S2_iiiii
    .private_segment_fixed_size: 0
    .sgpr_count:     86
    .sgpr_spill_count: 0
    .symbol:         _ZL13mm_ids_helperILi2EEvPKiPiS2_S2_iiiii.kd
    .uniform_work_group_size: 1
    .uses_dynamic_stack: false
    .vgpr_count:     50
    .vgpr_spill_count: 0
    .wavefront_size: 64
  - .args:
      - .actual_access:  read_only
        .address_space:  global
        .offset:         0
        .size:           8
        .value_kind:     global_buffer
      - .actual_access:  write_only
        .address_space:  global
        .offset:         8
        .size:           8
        .value_kind:     global_buffer
      - .actual_access:  write_only
        .address_space:  global
        .offset:         16
        .size:           8
        .value_kind:     global_buffer
      - .actual_access:  write_only
        .address_space:  global
        .offset:         24
        .size:           8
        .value_kind:     global_buffer
      - .offset:         32
        .size:           4
        .value_kind:     by_value
      - .offset:         36
        .size:           4
        .value_kind:     by_value
      - .offset:         40
        .size:           4
        .value_kind:     by_value
      - .offset:         44
        .size:           4
        .value_kind:     by_value
      - .offset:         48
        .size:           4
        .value_kind:     by_value
      - .offset:         56
        .size:           4
        .value_kind:     hidden_block_count_x
      - .offset:         60
        .size:           4
        .value_kind:     hidden_block_count_y
      - .offset:         64
        .size:           4
        .value_kind:     hidden_block_count_z
      - .offset:         68
        .size:           2
        .value_kind:     hidden_group_size_x
      - .offset:         70
        .size:           2
        .value_kind:     hidden_group_size_y
      - .offset:         72
        .size:           2
        .value_kind:     hidden_group_size_z
      - .offset:         74
        .size:           2
        .value_kind:     hidden_remainder_x
      - .offset:         76
        .size:           2
        .value_kind:     hidden_remainder_y
      - .offset:         78
        .size:           2
        .value_kind:     hidden_remainder_z
      - .offset:         96
        .size:           8
        .value_kind:     hidden_global_offset_x
      - .offset:         104
        .size:           8
        .value_kind:     hidden_global_offset_y
      - .offset:         112
        .size:           8
        .value_kind:     hidden_global_offset_z
      - .offset:         120
        .size:           2
        .value_kind:     hidden_grid_dims
      - .offset:         176
        .size:           4
        .value_kind:     hidden_dynamic_lds_size
    .group_segment_fixed_size: 0
    .kernarg_segment_align: 8
    .kernarg_segment_size: 312
    .language:       OpenCL C
    .language_version:
      - 2
      - 0
    .max_flat_workgroup_size: 64
    .name:           _ZL13mm_ids_helperILi4EEvPKiPiS2_S2_iiiii
    .private_segment_fixed_size: 0
    .sgpr_count:     54
    .sgpr_spill_count: 0
    .symbol:         _ZL13mm_ids_helperILi4EEvPKiPiS2_S2_iiiii.kd
    .uniform_work_group_size: 1
    .uses_dynamic_stack: false
    .vgpr_count:     34
    .vgpr_spill_count: 0
    .wavefront_size: 64
  - .args:
      - .actual_access:  read_only
        .address_space:  global
        .offset:         0
        .size:           8
        .value_kind:     global_buffer
      - .actual_access:  write_only
        .address_space:  global
        .offset:         8
        .size:           8
        .value_kind:     global_buffer
      - .actual_access:  write_only
        .address_space:  global
        .offset:         16
        .size:           8
        .value_kind:     global_buffer
      - .actual_access:  write_only
        .address_space:  global
        .offset:         24
        .size:           8
        .value_kind:     global_buffer
      - .offset:         32
        .size:           4
        .value_kind:     by_value
      - .offset:         36
        .size:           4
        .value_kind:     by_value
      - .offset:         40
        .size:           4
        .value_kind:     by_value
      - .offset:         44
        .size:           4
        .value_kind:     by_value
      - .offset:         48
        .size:           4
        .value_kind:     by_value
      - .offset:         56
        .size:           4
        .value_kind:     hidden_block_count_x
      - .offset:         60
        .size:           4
        .value_kind:     hidden_block_count_y
      - .offset:         64
        .size:           4
        .value_kind:     hidden_block_count_z
      - .offset:         68
        .size:           2
        .value_kind:     hidden_group_size_x
      - .offset:         70
        .size:           2
        .value_kind:     hidden_group_size_y
      - .offset:         72
        .size:           2
        .value_kind:     hidden_group_size_z
      - .offset:         74
        .size:           2
        .value_kind:     hidden_remainder_x
      - .offset:         76
        .size:           2
        .value_kind:     hidden_remainder_y
      - .offset:         78
        .size:           2
        .value_kind:     hidden_remainder_z
      - .offset:         96
        .size:           8
        .value_kind:     hidden_global_offset_x
      - .offset:         104
        .size:           8
        .value_kind:     hidden_global_offset_y
      - .offset:         112
        .size:           8
        .value_kind:     hidden_global_offset_z
      - .offset:         120
        .size:           2
        .value_kind:     hidden_grid_dims
      - .offset:         176
        .size:           4
        .value_kind:     hidden_dynamic_lds_size
    .group_segment_fixed_size: 0
    .kernarg_segment_align: 8
    .kernarg_segment_size: 312
    .language:       OpenCL C
    .language_version:
      - 2
      - 0
    .max_flat_workgroup_size: 64
    .name:           _ZL13mm_ids_helperILi6EEvPKiPiS2_S2_iiiii
    .private_segment_fixed_size: 0
    .sgpr_count:     40
    .sgpr_spill_count: 0
    .symbol:         _ZL13mm_ids_helperILi6EEvPKiPiS2_S2_iiiii.kd
    .uniform_work_group_size: 1
    .uses_dynamic_stack: false
    .vgpr_count:     30
    .vgpr_spill_count: 0
    .wavefront_size: 64
  - .args:
      - .actual_access:  read_only
        .address_space:  global
        .offset:         0
        .size:           8
        .value_kind:     global_buffer
      - .actual_access:  write_only
        .address_space:  global
        .offset:         8
        .size:           8
        .value_kind:     global_buffer
      - .actual_access:  write_only
        .address_space:  global
        .offset:         16
        .size:           8
        .value_kind:     global_buffer
      - .actual_access:  write_only
        .address_space:  global
        .offset:         24
        .size:           8
        .value_kind:     global_buffer
      - .offset:         32
        .size:           4
        .value_kind:     by_value
      - .offset:         36
        .size:           4
        .value_kind:     by_value
      - .offset:         40
        .size:           4
        .value_kind:     by_value
      - .offset:         44
        .size:           4
        .value_kind:     by_value
      - .offset:         48
        .size:           4
        .value_kind:     by_value
      - .offset:         56
        .size:           4
        .value_kind:     hidden_block_count_x
      - .offset:         60
        .size:           4
        .value_kind:     hidden_block_count_y
      - .offset:         64
        .size:           4
        .value_kind:     hidden_block_count_z
      - .offset:         68
        .size:           2
        .value_kind:     hidden_group_size_x
      - .offset:         70
        .size:           2
        .value_kind:     hidden_group_size_y
      - .offset:         72
        .size:           2
        .value_kind:     hidden_group_size_z
      - .offset:         74
        .size:           2
        .value_kind:     hidden_remainder_x
      - .offset:         76
        .size:           2
        .value_kind:     hidden_remainder_y
      - .offset:         78
        .size:           2
        .value_kind:     hidden_remainder_z
      - .offset:         96
        .size:           8
        .value_kind:     hidden_global_offset_x
      - .offset:         104
        .size:           8
        .value_kind:     hidden_global_offset_y
      - .offset:         112
        .size:           8
        .value_kind:     hidden_global_offset_z
      - .offset:         120
        .size:           2
        .value_kind:     hidden_grid_dims
      - .offset:         176
        .size:           4
        .value_kind:     hidden_dynamic_lds_size
    .group_segment_fixed_size: 0
    .kernarg_segment_align: 8
    .kernarg_segment_size: 312
    .language:       OpenCL C
    .language_version:
      - 2
      - 0
    .max_flat_workgroup_size: 64
    .name:           _ZL13mm_ids_helperILi8EEvPKiPiS2_S2_iiiii
    .private_segment_fixed_size: 0
    .sgpr_count:     38
    .sgpr_spill_count: 0
    .symbol:         _ZL13mm_ids_helperILi8EEvPKiPiS2_S2_iiiii.kd
    .uniform_work_group_size: 1
    .uses_dynamic_stack: false
    .vgpr_count:     30
    .vgpr_spill_count: 0
    .wavefront_size: 64
  - .args:
      - .actual_access:  read_only
        .address_space:  global
        .offset:         0
        .size:           8
        .value_kind:     global_buffer
      - .actual_access:  write_only
        .address_space:  global
        .offset:         8
        .size:           8
        .value_kind:     global_buffer
      - .actual_access:  write_only
        .address_space:  global
        .offset:         16
        .size:           8
        .value_kind:     global_buffer
      - .actual_access:  write_only
        .address_space:  global
        .offset:         24
        .size:           8
        .value_kind:     global_buffer
      - .offset:         32
        .size:           4
        .value_kind:     by_value
      - .offset:         36
        .size:           4
        .value_kind:     by_value
      - .offset:         40
        .size:           4
        .value_kind:     by_value
      - .offset:         44
        .size:           4
        .value_kind:     by_value
      - .offset:         48
        .size:           4
        .value_kind:     by_value
      - .offset:         56
        .size:           4
        .value_kind:     hidden_block_count_x
      - .offset:         60
        .size:           4
        .value_kind:     hidden_block_count_y
      - .offset:         64
        .size:           4
        .value_kind:     hidden_block_count_z
      - .offset:         68
        .size:           2
        .value_kind:     hidden_group_size_x
      - .offset:         70
        .size:           2
        .value_kind:     hidden_group_size_y
      - .offset:         72
        .size:           2
        .value_kind:     hidden_group_size_z
      - .offset:         74
        .size:           2
        .value_kind:     hidden_remainder_x
      - .offset:         76
        .size:           2
        .value_kind:     hidden_remainder_y
      - .offset:         78
        .size:           2
        .value_kind:     hidden_remainder_z
      - .offset:         96
        .size:           8
        .value_kind:     hidden_global_offset_x
      - .offset:         104
        .size:           8
        .value_kind:     hidden_global_offset_y
      - .offset:         112
        .size:           8
        .value_kind:     hidden_global_offset_z
      - .offset:         120
        .size:           2
        .value_kind:     hidden_grid_dims
      - .offset:         176
        .size:           4
        .value_kind:     hidden_dynamic_lds_size
    .group_segment_fixed_size: 0
    .kernarg_segment_align: 8
    .kernarg_segment_size: 312
    .language:       OpenCL C
    .language_version:
      - 2
      - 0
    .max_flat_workgroup_size: 64
    .name:           _ZL13mm_ids_helperILi16EEvPKiPiS2_S2_iiiii
    .private_segment_fixed_size: 0
    .sgpr_count:     29
    .sgpr_spill_count: 0
    .symbol:         _ZL13mm_ids_helperILi16EEvPKiPiS2_S2_iiiii.kd
    .uniform_work_group_size: 1
    .uses_dynamic_stack: false
    .vgpr_count:     26
    .vgpr_spill_count: 0
    .wavefront_size: 64
  - .args:
      - .actual_access:  read_only
        .address_space:  global
        .offset:         0
        .size:           8
        .value_kind:     global_buffer
      - .actual_access:  write_only
        .address_space:  global
        .offset:         8
        .size:           8
        .value_kind:     global_buffer
      - .actual_access:  write_only
        .address_space:  global
        .offset:         16
        .size:           8
        .value_kind:     global_buffer
      - .actual_access:  write_only
        .address_space:  global
        .offset:         24
        .size:           8
        .value_kind:     global_buffer
      - .offset:         32
        .size:           4
        .value_kind:     by_value
      - .offset:         36
        .size:           4
        .value_kind:     by_value
      - .offset:         40
        .size:           4
        .value_kind:     by_value
      - .offset:         44
        .size:           4
        .value_kind:     by_value
      - .offset:         48
        .size:           4
        .value_kind:     by_value
      - .offset:         56
        .size:           4
        .value_kind:     hidden_block_count_x
      - .offset:         60
        .size:           4
        .value_kind:     hidden_block_count_y
      - .offset:         64
        .size:           4
        .value_kind:     hidden_block_count_z
      - .offset:         68
        .size:           2
        .value_kind:     hidden_group_size_x
      - .offset:         70
        .size:           2
        .value_kind:     hidden_group_size_y
      - .offset:         72
        .size:           2
        .value_kind:     hidden_group_size_z
      - .offset:         74
        .size:           2
        .value_kind:     hidden_remainder_x
      - .offset:         76
        .size:           2
        .value_kind:     hidden_remainder_y
      - .offset:         78
        .size:           2
        .value_kind:     hidden_remainder_z
      - .offset:         96
        .size:           8
        .value_kind:     hidden_global_offset_x
      - .offset:         104
        .size:           8
        .value_kind:     hidden_global_offset_y
      - .offset:         112
        .size:           8
        .value_kind:     hidden_global_offset_z
      - .offset:         120
        .size:           2
        .value_kind:     hidden_grid_dims
      - .offset:         176
        .size:           4
        .value_kind:     hidden_dynamic_lds_size
    .group_segment_fixed_size: 0
    .kernarg_segment_align: 8
    .kernarg_segment_size: 312
    .language:       OpenCL C
    .language_version:
      - 2
      - 0
    .max_flat_workgroup_size: 64
    .name:           _ZL13mm_ids_helperILi32EEvPKiPiS2_S2_iiiii
    .private_segment_fixed_size: 0
    .sgpr_count:     25
    .sgpr_spill_count: 0
    .symbol:         _ZL13mm_ids_helperILi32EEvPKiPiS2_S2_iiiii.kd
    .uniform_work_group_size: 1
    .uses_dynamic_stack: false
    .vgpr_count:     26
    .vgpr_spill_count: 0
    .wavefront_size: 64
  - .args:
      - .actual_access:  read_only
        .address_space:  global
        .offset:         0
        .size:           8
        .value_kind:     global_buffer
      - .actual_access:  write_only
        .address_space:  global
        .offset:         8
        .size:           8
        .value_kind:     global_buffer
      - .actual_access:  write_only
        .address_space:  global
        .offset:         16
        .size:           8
        .value_kind:     global_buffer
      - .actual_access:  write_only
        .address_space:  global
        .offset:         24
        .size:           8
        .value_kind:     global_buffer
      - .offset:         32
        .size:           4
        .value_kind:     by_value
      - .offset:         36
        .size:           4
        .value_kind:     by_value
      - .offset:         40
        .size:           4
        .value_kind:     by_value
      - .offset:         44
        .size:           4
        .value_kind:     by_value
      - .offset:         48
        .size:           4
        .value_kind:     by_value
      - .offset:         56
        .size:           4
        .value_kind:     hidden_block_count_x
      - .offset:         60
        .size:           4
        .value_kind:     hidden_block_count_y
      - .offset:         64
        .size:           4
        .value_kind:     hidden_block_count_z
      - .offset:         68
        .size:           2
        .value_kind:     hidden_group_size_x
      - .offset:         70
        .size:           2
        .value_kind:     hidden_group_size_y
      - .offset:         72
        .size:           2
        .value_kind:     hidden_group_size_z
      - .offset:         74
        .size:           2
        .value_kind:     hidden_remainder_x
      - .offset:         76
        .size:           2
        .value_kind:     hidden_remainder_y
      - .offset:         78
        .size:           2
        .value_kind:     hidden_remainder_z
      - .offset:         96
        .size:           8
        .value_kind:     hidden_global_offset_x
      - .offset:         104
        .size:           8
        .value_kind:     hidden_global_offset_y
      - .offset:         112
        .size:           8
        .value_kind:     hidden_global_offset_z
      - .offset:         120
        .size:           2
        .value_kind:     hidden_grid_dims
      - .offset:         176
        .size:           4
        .value_kind:     hidden_dynamic_lds_size
    .group_segment_fixed_size: 0
    .kernarg_segment_align: 8
    .kernarg_segment_size: 312
    .language:       OpenCL C
    .language_version:
      - 2
      - 0
    .max_flat_workgroup_size: 64
    .name:           _ZL13mm_ids_helperILi0EEvPKiPiS2_S2_iiiii
    .private_segment_fixed_size: 0
    .sgpr_count:     30
    .sgpr_spill_count: 0
    .symbol:         _ZL13mm_ids_helperILi0EEvPKiPiS2_S2_iiiii.kd
    .uniform_work_group_size: 1
    .uses_dynamic_stack: false
    .vgpr_count:     17
    .vgpr_spill_count: 0
    .wavefront_size: 64
amdhsa.target:   amdgcn-amd-amdhsa--gfx906
amdhsa.version:
  - 1
  - 2
...

	.end_amdgpu_metadata
